;; amdgpu-corpus repo=ROCm/rocFFT kind=compiled arch=gfx1100 opt=O3
	.text
	.amdgcn_target "amdgcn-amd-amdhsa--gfx1100"
	.amdhsa_code_object_version 6
	.protected	bluestein_single_back_len4050_dim1_half_op_CI_CI ; -- Begin function bluestein_single_back_len4050_dim1_half_op_CI_CI
	.globl	bluestein_single_back_len4050_dim1_half_op_CI_CI
	.p2align	8
	.type	bluestein_single_back_len4050_dim1_half_op_CI_CI,@function
bluestein_single_back_len4050_dim1_half_op_CI_CI: ; @bluestein_single_back_len4050_dim1_half_op_CI_CI
; %bb.0:
	s_load_b128 s[16:19], s[0:1], 0x28
	v_mul_u32_u24_e32 v1, 0x1e6, v0
	s_mov_b32 s2, exec_lo
	v_mov_b32_e32 v3, 0
	s_delay_alu instid0(VALU_DEP_2) | instskip(NEXT) | instid1(VALU_DEP_1)
	v_lshrrev_b32_e32 v1, 16, v1
	v_add_nc_u32_e32 v2, s15, v1
	s_waitcnt lgkmcnt(0)
	s_delay_alu instid0(VALU_DEP_1)
	v_cmpx_gt_u64_e64 s[16:17], v[2:3]
	s_cbranch_execz .LBB0_2
; %bb.1:
	s_clause 0x1
	s_load_b128 s[8:11], s[0:1], 0x18
	s_load_b128 s[4:7], s[0:1], 0x0
	v_mul_lo_u16 v1, 0x87, v1
	s_load_b64 s[0:1], s[0:1], 0x38
	v_mov_b32_e32 v6, v2
	s_delay_alu instid0(VALU_DEP_2) | instskip(SKIP_2) | instid1(VALU_DEP_1)
	v_sub_nc_u16 v89, v0, v1
	scratch_store_b64 off, v[6:7], off offset:216 ; 8-byte Folded Spill
	v_and_b32_e32 v177, 0xffff, v89
	v_lshlrev_b32_e32 v175, 2, v177
	v_add_co_u32 v73, null, 0x10e, v177
	s_waitcnt lgkmcnt(0)
	s_load_b128 s[12:15], s[8:9], 0x0
	s_clause 0x2
	global_load_b32 v25, v175, s[4:5]
	global_load_b32 v24, v175, s[4:5] offset:1620
	global_load_b32 v23, v175, s[4:5] offset:3240
	v_add_co_u32 v149, null, 0x21c, v177
	v_add_co_u32 v148, null, 0x2a3, v177
	;; [unrolled: 1-line block ×4, first 2 shown]
	v_add_nc_u32_e32 v162, 0xe00, v175
	s_waitcnt lgkmcnt(0)
	v_mad_u64_u32 v[0:1], null, s14, v2, 0
	v_mad_u64_u32 v[2:3], null, s12, v177, 0
	s_mul_i32 s2, s13, 0x654
	s_mul_hi_u32 s8, s12, 0x654
	s_mul_i32 s3, s12, 0x654
	s_add_i32 s2, s8, s2
	v_add_co_u32 v107, s8, s4, v175
	s_delay_alu instid0(VALU_DEP_2) | instskip(SKIP_1) | instid1(VALU_DEP_2)
	v_mad_u64_u32 v[4:5], null, s15, v6, v[1:2]
	v_add_co_ci_u32_e64 v108, null, s5, 0, s8
	v_mad_u64_u32 v[5:6], null, s13, v177, v[3:4]
	v_mov_b32_e32 v1, v4
	s_delay_alu instid0(VALU_DEP_1) | instskip(NEXT) | instid1(VALU_DEP_3)
	v_lshlrev_b64 v[0:1], 2, v[0:1]
	v_mov_b32_e32 v3, v5
	s_delay_alu instid0(VALU_DEP_2) | instskip(NEXT) | instid1(VALU_DEP_2)
	v_add_co_u32 v0, vcc_lo, s18, v0
	v_lshlrev_b64 v[2:3], 2, v[2:3]
	s_delay_alu instid0(VALU_DEP_4) | instskip(NEXT) | instid1(VALU_DEP_2)
	v_add_co_ci_u32_e32 v1, vcc_lo, s19, v1, vcc_lo
	v_add_co_u32 v0, vcc_lo, v0, v2
	s_delay_alu instid0(VALU_DEP_2) | instskip(SKIP_3) | instid1(VALU_DEP_2)
	v_add_co_ci_u32_e32 v1, vcc_lo, v1, v3, vcc_lo
	global_load_b32 v10, v[0:1], off
	v_add_co_u32 v0, vcc_lo, v0, s3
	v_add_co_ci_u32_e32 v1, vcc_lo, s2, v1, vcc_lo
	v_add_co_u32 v2, vcc_lo, v0, s3
	global_load_b32 v11, v[0:1], off
	v_add_co_ci_u32_e32 v3, vcc_lo, s2, v1, vcc_lo
	global_load_b32 v9, v[2:3], off
	v_add_co_u32 v0, vcc_lo, 0x1000, v107
	v_add_co_ci_u32_e32 v1, vcc_lo, 0, v108, vcc_lo
	v_add_co_u32 v2, vcc_lo, v2, s3
	v_add_co_ci_u32_e32 v3, vcc_lo, s2, v3, vcc_lo
	global_load_b32 v22, v[0:1], off offset:764
	global_load_b32 v8, v[2:3], off
	v_add_co_u32 v2, vcc_lo, v2, s3
	v_add_co_ci_u32_e32 v3, vcc_lo, s2, v3, vcc_lo
	global_load_b32 v21, v[0:1], off offset:2384
	global_load_b32 v6, v[2:3], off
	;; [unrolled: 4-line block ×3, first 2 shown]
	v_add_co_u32 v2, vcc_lo, v2, s3
	v_add_co_ci_u32_e32 v3, vcc_lo, s2, v3, vcc_lo
	s_clause 0x1
	global_load_b32 v19, v175, s[4:5] offset:540
	global_load_b32 v38, v175, s[4:5] offset:2160
	v_add_co_u32 v4, vcc_lo, v2, s3
	v_add_co_ci_u32_e32 v5, vcc_lo, s2, v3, vcc_lo
	s_clause 0x2
	global_load_b32 v46, v175, s[4:5] offset:3780
	global_load_b32 v28, v175, s[4:5] offset:2700
	;; [unrolled: 1-line block ×3, first 2 shown]
	v_add_co_u32 v12, vcc_lo, v4, s3
	v_add_co_ci_u32_e32 v13, vcc_lo, s2, v5, vcc_lo
	s_mul_i32 s4, s13, 0xffffc928
	s_delay_alu instid0(VALU_DEP_2) | instskip(NEXT) | instid1(VALU_DEP_2)
	v_add_co_u32 v14, vcc_lo, v12, s3
	v_add_co_ci_u32_e32 v15, vcc_lo, s2, v13, vcc_lo
	s_sub_i32 s4, s4, s12
	s_clause 0x4
	global_load_b32 v43, v[0:1], off offset:1304
	global_load_b32 v45, v[0:1], off offset:2924
	;; [unrolled: 1-line block ×5, first 2 shown]
	v_mad_u64_u32 v[16:17], null, 0xffffc928, s12, v[14:15]
	s_delay_alu instid0(VALU_DEP_1)
	v_add_nc_u32_e32 v17, s4, v17
	global_load_b32 v18, v[2:3], off
	global_load_b32 v4, v[4:5], off
	;; [unrolled: 1-line block ×5, first 2 shown]
	v_add_co_u32 v0, vcc_lo, v16, s3
	v_add_co_ci_u32_e32 v1, vcc_lo, s2, v17, vcc_lo
	s_waitcnt vmcnt(26)
	v_lshrrev_b32_e32 v14, 16, v25
	s_waitcnt vmcnt(25)
	v_lshrrev_b32_e32 v26, 16, v24
	;; [unrolled: 2-line block ×3, first 2 shown]
	s_clause 0x2
	scratch_store_b32 off, v25, off offset:244
	scratch_store_b32 off, v24, off offset:236
	;; [unrolled: 1-line block ×3, first 2 shown]
	s_waitcnt vmcnt(23)
	v_lshrrev_b32_e32 v2, 16, v10
	v_mul_f16_e32 v3, v14, v10
	s_delay_alu instid0(VALU_DEP_2) | instskip(NEXT) | instid1(VALU_DEP_2)
	v_mul_f16_e32 v14, v14, v2
	v_fma_f16 v2, v25, v2, -v3
	s_waitcnt vmcnt(22)
	v_lshrrev_b32_e32 v15, 16, v11
	v_mul_f16_e32 v16, v26, v11
	v_fmac_f16_e32 v14, v25, v10
	v_mov_b32_e32 v25, v17
	scratch_store_b32 off, v26, off offset:232 ; 4-byte Folded Spill
	v_mul_f16_e32 v3, v26, v15
	v_fma_f16 v10, v24, v15, -v16
	s_waitcnt vmcnt(21)
	v_lshrrev_b32_e32 v15, 16, v9
	v_mul_f16_e32 v16, v25, v9
	s_clause 0x1
	scratch_store_b32 off, v23, off offset:228
	scratch_store_b32 off, v25, off offset:224
	v_fmac_f16_e32 v3, v24, v11
	v_pack_b32_f16 v11, v14, v2
	v_fma_f16 v2, v23, v15, -v16
	v_mul_f16_e32 v14, v25, v15
	s_waitcnt vmcnt(20)
	v_lshrrev_b32_e32 v17, 16, v22
	s_waitcnt vmcnt(19)
	v_lshrrev_b32_e32 v15, 16, v8
	v_pack_b32_f16 v3, v3, v10
	v_fmac_f16_e32 v14, v23, v9
	scratch_store_b32 off, v22, off offset:212 ; 4-byte Folded Spill
	v_mul_f16_e32 v10, v17, v8
	s_waitcnt vmcnt(18)
	v_lshrrev_b32_e32 v16, 16, v21
	v_pack_b32_f16 v2, v14, v2
	ds_store_b32 v175, v3 offset:1620
	v_fma_f16 v9, v22, v15, -v10
	v_mul_f16_e32 v10, v17, v15
	s_waitcnt vmcnt(17)
	v_lshrrev_b32_e32 v3, 16, v6
	v_mul_f16_e32 v14, v16, v6
	s_waitcnt vmcnt(16)
	v_lshrrev_b32_e32 v15, 16, v20
	v_fmac_f16_e32 v10, v22, v8
	s_delay_alu instid0(VALU_DEP_3) | instskip(SKIP_1) | instid1(VALU_DEP_3)
	v_fma_f16 v8, v21, v3, -v14
	v_mul_f16_e32 v14, v16, v3
	v_pack_b32_f16 v3, v10, v9
	ds_store_b32 v175, v2 offset:3240
	s_waitcnt vmcnt(15)
	v_lshrrev_b32_e32 v2, 16, v7
	v_mul_f16_e32 v9, v15, v7
	v_fmac_f16_e32 v14, v21, v6
	ds_store_b32 v175, v3 offset:4860
	s_waitcnt vmcnt(13)
	v_lshrrev_b32_e32 v40, 16, v38
	v_fma_f16 v6, v20, v2, -v9
	v_mul_f16_e32 v9, v15, v2
	v_add_co_u32 v2, vcc_lo, 0x2000, v107
	v_add_co_ci_u32_e32 v3, vcc_lo, 0, v108, vcc_lo
	s_delay_alu instid0(VALU_DEP_3)
	v_fmac_f16_e32 v9, v20, v7
	v_pack_b32_f16 v7, v14, v8
	v_add_co_u32 v25, vcc_lo, 0x3000, v107
	s_clause 0x1
	global_load_b32 v10, v[2:3], off offset:1528
	global_load_b32 v44, v[2:3], off offset:2068
	v_pack_b32_f16 v6, v9, v6
	v_add_co_ci_u32_e32 v26, vcc_lo, 0, v108, vcc_lo
	s_waitcnt vmcnt(6)
	v_lshrrev_b32_e32 v8, 16, v18
	s_waitcnt vmcnt(1)
	v_lshrrev_b32_e32 v14, 16, v10
	s_clause 0x4
	scratch_store_b32 off, v17, off offset:208
	scratch_store_b32 off, v21, off offset:204
	;; [unrolled: 1-line block ×5, first 2 shown]
	s_clause 0x2
	global_load_b32 v39, v[2:3], off offset:3688
	global_load_b32 v32, v[2:3], off offset:2608
	global_load_b32 v33, v[2:3], off offset:988
	scratch_store_b32 off, v14, off offset:188 ; 4-byte Folded Spill
	global_load_b32 v15, v[2:3], off offset:3148
	v_mul_f16_e32 v9, v14, v18
	s_delay_alu instid0(VALU_DEP_1) | instskip(SKIP_1) | instid1(VALU_DEP_1)
	v_fma_f16 v9, v10, v8, -v9
	v_mul_f16_e32 v8, v14, v8
	v_fmac_f16_e32 v8, v10, v18
	s_delay_alu instid0(VALU_DEP_1)
	v_pack_b32_f16 v8, v8, v9
	s_waitcnt vmcnt(0)
	v_lshrrev_b32_e32 v16, 16, v15
	scratch_store_b32 off, v10, off offset:184 ; 4-byte Folded Spill
	v_lshrrev_b32_e32 v10, 16, v4
	v_mul_f16_e32 v14, v16, v4
	scratch_store_b32 off, v16, off offset:180 ; 4-byte Folded Spill
	v_fma_f16 v14, v15, v10, -v14
	v_mul_f16_e32 v10, v16, v10
	global_load_b32 v16, v[25:26], off offset:672
	v_fmac_f16_e32 v10, v15, v4
	v_lshrrev_b32_e32 v4, 16, v5
	s_delay_alu instid0(VALU_DEP_2)
	v_pack_b32_f16 v9, v10, v14
	s_waitcnt vmcnt(0)
	v_lshrrev_b32_e32 v17, 16, v16
	s_clause 0x1
	scratch_store_b32 off, v16, off offset:168
	scratch_store_b32 off, v15, off offset:176
	s_clause 0x4
	global_load_b32 v42, v[25:26], off offset:1212
	global_load_b32 v36, v[25:26], off offset:2832
	;; [unrolled: 1-line block ×5, first 2 shown]
	scratch_store_b32 off, v17, off offset:172 ; 4-byte Folded Spill
	v_mul_f16_e32 v15, v17, v5
	s_delay_alu instid0(VALU_DEP_1) | instskip(SKIP_4) | instid1(VALU_DEP_2)
	v_fma_f16 v15, v16, v4, -v15
	v_mul_f16_e32 v4, v17, v4
	global_load_b32 v17, v[25:26], off offset:2292
	v_fmac_f16_e32 v4, v16, v5
	v_lshrrev_b32_e32 v5, 16, v12
	v_pack_b32_f16 v4, v4, v15
	s_waitcnt vmcnt(0)
	v_lshrrev_b32_e32 v18, 16, v17
	s_clause 0x1
	scratch_store_b32 off, v17, off offset:152
	scratch_store_b32 off, v18, off offset:156
	v_mul_f16_e32 v16, v18, v12
	s_delay_alu instid0(VALU_DEP_1)
	v_fma_f16 v16, v17, v5, -v16
	v_mul_f16_e32 v5, v18, v5
	v_lshrrev_b32_e32 v18, 16, v19
	scratch_store_b32 off, v19, off offset:160 ; 4-byte Folded Spill
	v_fmac_f16_e32 v5, v17, v12
	scratch_store_b32 off, v18, off offset:164 ; 4-byte Folded Spill
	v_lshrrev_b32_e32 v12, 16, v13
	v_mul_f16_e32 v17, v18, v13
	v_pack_b32_f16 v5, v5, v16
	s_delay_alu instid0(VALU_DEP_2) | instskip(SKIP_1) | instid1(VALU_DEP_1)
	v_fma_f16 v17, v19, v12, -v17
	v_mul_f16_e32 v12, v18, v12
	v_fmac_f16_e32 v12, v19, v13
	s_delay_alu instid0(VALU_DEP_1)
	v_pack_b32_f16 v10, v12, v17
	ds_store_b32 v175, v7 offset:6480
	ds_store_b32 v175, v6 offset:8100
	;; [unrolled: 1-line block ×6, first 2 shown]
	ds_store_2addr_b32 v175, v11, v10 offset1:135
	v_add_co_u32 v4, vcc_lo, v0, s3
	v_add_co_ci_u32_e32 v5, vcc_lo, s2, v1, vcc_lo
	global_load_b32 v24, v[0:1], off
	v_add_co_u32 v0, vcc_lo, v4, s3
	v_add_co_ci_u32_e32 v1, vcc_lo, s2, v5, vcc_lo
	s_clause 0x1
	scratch_store_b32 off, v38, off offset:136
	scratch_store_b32 off, v40, off offset:140
	v_add_co_u32 v6, vcc_lo, v0, s3
	v_add_co_ci_u32_e32 v7, vcc_lo, s2, v1, vcc_lo
	scratch_store_b32 off, v44, off offset:112 ; 4-byte Folded Spill
	v_add_co_u32 v8, vcc_lo, v6, s3
	v_add_co_ci_u32_e32 v9, vcc_lo, s2, v7, vcc_lo
	global_load_b32 v6, v[6:7], off
	v_add_co_u32 v10, vcc_lo, v8, s3
	v_add_co_ci_u32_e32 v11, vcc_lo, s2, v9, vcc_lo
	s_delay_alu instid0(VALU_DEP_2) | instskip(NEXT) | instid1(VALU_DEP_2)
	v_add_co_u32 v12, vcc_lo, v10, s3
	v_add_co_ci_u32_e32 v13, vcc_lo, s2, v11, vcc_lo
	s_delay_alu instid0(VALU_DEP_2) | instskip(NEXT) | instid1(VALU_DEP_2)
	;; [unrolled: 3-line block ×3, first 2 shown]
	v_add_co_u32 v16, vcc_lo, v14, s3
	v_add_co_ci_u32_e32 v17, vcc_lo, s2, v15, vcc_lo
	s_delay_alu instid0(VALU_DEP_1) | instskip(NEXT) | instid1(VALU_DEP_1)
	v_mad_u64_u32 v[18:19], null, 0xffffc928, s12, v[16:17]
	v_add_nc_u32_e32 v19, s4, v19
	s_delay_alu instid0(VALU_DEP_2) | instskip(NEXT) | instid1(VALU_DEP_2)
	v_add_co_u32 v20, vcc_lo, v18, s3
	v_add_co_ci_u32_e32 v21, vcc_lo, s2, v19, vcc_lo
	s_delay_alu instid0(VALU_DEP_2)
	v_add_co_u32 v22, vcc_lo, v20, s3
	global_load_b32 v20, v[20:21], off
	v_add_co_ci_u32_e32 v23, vcc_lo, s2, v21, vcc_lo
	s_waitcnt vmcnt(2)
	v_lshrrev_b32_e32 v21, 16, v24
	v_mul_f16_e32 v27, v40, v24
	s_delay_alu instid0(VALU_DEP_1) | instskip(SKIP_1) | instid1(VALU_DEP_1)
	v_fma_f16 v27, v38, v21, -v27
	v_mul_f16_e32 v21, v40, v21
	v_fmac_f16_e32 v21, v38, v24
	v_dual_mov_b32 v38, v28 :: v_dual_add_nc_u32 v153, 0x800, v175
	v_add_nc_u32_e32 v212, 0x1400, v175
	v_add_nc_u32_e32 v189, 0x2000, v175
	;; [unrolled: 1-line block ×3, first 2 shown]
	s_delay_alu instid0(VALU_DEP_4)
	v_lshrrev_b32_e32 v40, 16, v38
	v_add_nc_u32_e32 v179, 0x2e00, v175
	v_add_nc_u32_e32 v169, 0x3400, v175
	;; [unrolled: 1-line block ×4, first 2 shown]
	scratch_store_b32 off, v40, off offset:68 ; 4-byte Folded Spill
	v_add_nc_u32_e32 v171, 0x2500, v175
	v_add_nc_u32_e32 v180, 0x1800, v175
	;; [unrolled: 1-line block ×8, first 2 shown]
	s_waitcnt vmcnt(0)
	v_lshrrev_b32_e32 v24, 16, v20
	v_mul_f16_e32 v28, v40, v20
	s_delay_alu instid0(VALU_DEP_1) | instskip(SKIP_1) | instid1(VALU_DEP_1)
	v_fma_f16 v28, v38, v24, -v28
	v_mul_f16_e32 v24, v40, v24
	v_fmac_f16_e32 v24, v38, v20
	v_pack_b32_f16 v20, v21, v27
	v_lshrrev_b32_e32 v27, 16, v37
	s_delay_alu instid0(VALU_DEP_3)
	v_pack_b32_f16 v21, v24, v28
	v_lshrrev_b32_e32 v24, 16, v46
	s_clause 0x1
	scratch_store_b32 off, v46, off offset:144
	scratch_store_b32 off, v27, off offset:60
	ds_store_2addr_b32 v153, v20, v21 offset0:28 offset1:163
	scratch_store_b32 off, v24, off offset:148 ; 4-byte Folded Spill
	global_load_b32 v20, v[4:5], off
	global_load_b32 v21, v[22:23], off
	v_add_co_u32 v4, vcc_lo, v22, s3
	v_add_co_ci_u32_e32 v5, vcc_lo, s2, v23, vcc_lo
	s_waitcnt vmcnt(1)
	v_lshrrev_b32_e32 v22, 16, v20
	v_mul_f16_e32 v23, v24, v20
	s_delay_alu instid0(VALU_DEP_1) | instskip(SKIP_3) | instid1(VALU_DEP_2)
	v_fma_f16 v23, v46, v22, -v23
	v_mul_f16_e32 v22, v24, v22
	s_waitcnt vmcnt(0)
	v_mul_f16_e32 v24, v27, v21
	v_fmac_f16_e32 v22, v46, v20
	v_lshrrev_b32_e32 v20, 16, v21
	s_delay_alu instid0(VALU_DEP_1) | instskip(SKIP_1) | instid1(VALU_DEP_1)
	v_fma_f16 v24, v37, v20, -v24
	v_mul_f16_e32 v20, v27, v20
	v_fmac_f16_e32 v20, v37, v21
	v_pack_b32_f16 v21, v22, v23
	v_lshrrev_b32_e32 v22, 16, v43
	v_lshrrev_b32_e32 v23, 16, v35
	s_delay_alu instid0(VALU_DEP_4)
	v_pack_b32_f16 v20, v20, v24
	s_clause 0x1
	scratch_store_b32 off, v22, off offset:124
	scratch_store_b32 off, v23, off offset:52
	ds_store_2addr_b32 v162, v21, v20 offset0:49 offset1:184
	global_load_b32 v20, v[0:1], off
	v_add_co_u32 v0, vcc_lo, v4, s3
	global_load_b32 v4, v[4:5], off
	v_add_co_ci_u32_e32 v1, vcc_lo, s2, v5, vcc_lo
	s_waitcnt vmcnt(1)
	v_lshrrev_b32_e32 v5, 16, v20
	v_mul_f16_e32 v21, v22, v20
	s_delay_alu instid0(VALU_DEP_1) | instskip(SKIP_3) | instid1(VALU_DEP_2)
	v_fma_f16 v21, v43, v5, -v21
	v_mul_f16_e32 v5, v22, v5
	s_waitcnt vmcnt(0)
	v_mul_f16_e32 v22, v23, v4
	v_fmac_f16_e32 v5, v43, v20
	v_lshrrev_b32_e32 v20, 16, v4
	s_delay_alu instid0(VALU_DEP_1) | instskip(SKIP_1) | instid1(VALU_DEP_1)
	v_fma_f16 v22, v35, v20, -v22
	v_mul_f16_e32 v20, v23, v20
	v_fmac_f16_e32 v20, v35, v4
	v_pack_b32_f16 v4, v5, v21
	v_lshrrev_b32_e32 v21, 16, v34
	s_delay_alu instid0(VALU_DEP_3)
	v_pack_b32_f16 v5, v20, v22
	v_lshrrev_b32_e32 v20, 16, v45
	s_clause 0x1
	scratch_store_b32 off, v45, off offset:128
	scratch_store_b32 off, v21, off offset:44
	ds_store_2addr_b32 v212, v4, v5 offset0:70 offset1:205
	scratch_store_b32 off, v20, off offset:132 ; 4-byte Folded Spill
	v_add_co_u32 v4, vcc_lo, v0, s3
	global_load_b32 v0, v[0:1], off
	v_add_co_ci_u32_e32 v5, vcc_lo, s2, v1, vcc_lo
	v_lshrrev_b32_e32 v1, 16, v6
	v_mul_f16_e32 v7, v20, v6
	s_delay_alu instid0(VALU_DEP_1) | instskip(SKIP_1) | instid1(VALU_DEP_1)
	v_fma_f16 v7, v45, v1, -v7
	v_mul_f16_e32 v1, v20, v1
	v_fmac_f16_e32 v1, v45, v6
	s_waitcnt vmcnt(0)
	v_lshrrev_b32_e32 v6, 16, v0
	v_mul_f16_e32 v20, v21, v0
	s_delay_alu instid0(VALU_DEP_1) | instskip(SKIP_1) | instid1(VALU_DEP_1)
	v_fma_f16 v20, v34, v6, -v20
	v_mul_f16_e32 v6, v21, v6
	v_fmac_f16_e32 v6, v34, v0
	v_pack_b32_f16 v0, v1, v7
	s_delay_alu instid0(VALU_DEP_2)
	v_pack_b32_f16 v1, v6, v20
	v_add_nc_u32_e32 v6, 0x1a00, v175
	ds_store_2addr_b32 v6, v0, v1 offset0:91 offset1:226
	v_mov_b32_e32 v161, v6
	global_load_b32 v6, v[2:3], off offset:448
	global_load_b32 v2, v[8:9], off
	global_load_b32 v3, v[4:5], off
	v_add_co_u32 v0, vcc_lo, v4, s3
	v_add_co_ci_u32_e32 v1, vcc_lo, s2, v5, vcc_lo
	s_waitcnt vmcnt(2)
	v_lshrrev_b32_e32 v7, 16, v6
	s_waitcnt vmcnt(1)
	v_lshrrev_b32_e32 v4, 16, v2
	s_clause 0x1
	scratch_store_b32 off, v6, off offset:104
	scratch_store_b32 off, v7, off offset:108
	v_mul_f16_e32 v5, v7, v2
	s_delay_alu instid0(VALU_DEP_1)
	v_fma_f16 v5, v6, v4, -v5
	v_mul_f16_e32 v4, v7, v4
	v_lshrrev_b32_e32 v7, 16, v33
	s_clause 0x2
	scratch_store_b32 off, v34, off offset:40
	scratch_store_b32 off, v35, off offset:48
	;; [unrolled: 1-line block ×3, first 2 shown]
	v_fmac_f16_e32 v4, v6, v2
	s_waitcnt vmcnt(0)
	v_lshrrev_b32_e32 v2, 16, v3
	v_mul_f16_e32 v6, v7, v3
	s_clause 0x1
	scratch_store_b32 off, v7, off offset:36
	scratch_store_b32 off, v38, off offset:64
	v_fma_f16 v6, v33, v2, -v6
	v_mul_f16_e32 v2, v7, v2
	v_lshrrev_b32_e32 v7, 16, v32
	scratch_store_b32 off, v33, off offset:32 ; 4-byte Folded Spill
	v_fmac_f16_e32 v2, v33, v3
	scratch_store_b32 off, v7, off offset:28 ; 4-byte Folded Spill
	v_pack_b32_f16 v3, v4, v5
	global_load_b32 v4, v[10:11], off
	v_pack_b32_f16 v2, v2, v6
	v_lshrrev_b32_e32 v6, 16, v44
	scratch_store_b32 off, v43, off offset:120 ; 4-byte Folded Spill
	ds_store_2addr_b32 v189, v3, v2 offset0:112 offset1:247
	scratch_store_b32 off, v6, off offset:116 ; 4-byte Folded Spill
	v_add_co_u32 v2, vcc_lo, v0, s3
	global_load_b32 v0, v[0:1], off
	v_add_co_ci_u32_e32 v3, vcc_lo, s2, v1, vcc_lo
	s_waitcnt vmcnt(1)
	v_lshrrev_b32_e32 v1, 16, v4
	v_mul_f16_e32 v5, v6, v4
	s_delay_alu instid0(VALU_DEP_1) | instskip(SKIP_3) | instid1(VALU_DEP_2)
	v_fma_f16 v5, v44, v1, -v5
	v_mul_f16_e32 v1, v6, v1
	s_waitcnt vmcnt(0)
	v_mul_f16_e32 v6, v7, v0
	v_fmac_f16_e32 v1, v44, v4
	v_lshrrev_b32_e32 v4, 16, v0
	s_delay_alu instid0(VALU_DEP_1)
	v_fma_f16 v6, v32, v4, -v6
	v_mul_f16_e32 v4, v7, v4
	v_lshrrev_b32_e32 v7, 16, v31
	scratch_store_b32 off, v32, off offset:24 ; 4-byte Folded Spill
	v_fmac_f16_e32 v4, v32, v0
	scratch_store_b32 off, v7, off offset:20 ; 4-byte Folded Spill
	v_pack_b32_f16 v0, v1, v5
	v_pack_b32_f16 v1, v4, v6
	global_load_b32 v4, v[12:13], off
	v_lshrrev_b32_e32 v6, 16, v39
	scratch_store_b32 off, v39, off offset:88 ; 4-byte Folded Spill
	ds_store_2addr_b32 v168, v0, v1 offset0:5 offset1:140
	v_add_co_u32 v0, vcc_lo, v2, s3
	scratch_store_b32 off, v6, off offset:92 ; 4-byte Folded Spill
	global_load_b32 v2, v[2:3], off
	v_add_co_ci_u32_e32 v1, vcc_lo, s2, v3, vcc_lo
	s_waitcnt vmcnt(1)
	v_lshrrev_b32_e32 v3, 16, v4
	v_mul_f16_e32 v5, v6, v4
	s_delay_alu instid0(VALU_DEP_1) | instskip(SKIP_3) | instid1(VALU_DEP_2)
	v_fma_f16 v5, v39, v3, -v5
	v_mul_f16_e32 v3, v6, v3
	s_waitcnt vmcnt(0)
	v_mul_f16_e32 v6, v7, v2
	v_fmac_f16_e32 v3, v39, v4
	v_lshrrev_b32_e32 v4, 16, v2
	s_delay_alu instid0(VALU_DEP_1)
	v_fma_f16 v6, v31, v4, -v6
	v_mul_f16_e32 v4, v7, v4
	v_lshrrev_b32_e32 v7, 16, v30
	s_clause 0x1
	scratch_store_b32 off, v30, off offset:8
	scratch_store_b32 off, v31, off offset:16
	v_fmac_f16_e32 v4, v31, v2
	scratch_store_b32 off, v7, off offset:12 ; 4-byte Folded Spill
	v_pack_b32_f16 v2, v3, v5
	v_pack_b32_f16 v3, v4, v6
	global_load_b32 v4, v[14:15], off
	v_lshrrev_b32_e32 v6, 16, v42
	scratch_store_b32 off, v42, off offset:96 ; 4-byte Folded Spill
	ds_store_2addr_b32 v179, v2, v3 offset0:26 offset1:161
	v_add_co_u32 v2, vcc_lo, v0, s3
	scratch_store_b32 off, v6, off offset:100 ; 4-byte Folded Spill
	global_load_b32 v0, v[0:1], off
	v_add_co_ci_u32_e32 v3, vcc_lo, s2, v1, vcc_lo
	v_cmp_gt_u16_e32 vcc_lo, 15, v89
	v_add_nc_u32_e32 v178, 0x1c00, v175
	s_waitcnt vmcnt(1)
	v_lshrrev_b32_e32 v1, 16, v4
	v_mul_f16_e32 v5, v6, v4
	s_delay_alu instid0(VALU_DEP_1) | instskip(SKIP_3) | instid1(VALU_DEP_2)
	v_fma_f16 v5, v42, v1, -v5
	v_mul_f16_e32 v1, v6, v1
	s_waitcnt vmcnt(0)
	v_mul_f16_e32 v6, v7, v0
	v_fmac_f16_e32 v1, v42, v4
	v_lshrrev_b32_e32 v4, 16, v0
	s_delay_alu instid0(VALU_DEP_1) | instskip(SKIP_1) | instid1(VALU_DEP_1)
	v_fma_f16 v6, v30, v4, -v6
	v_mul_f16_e32 v4, v7, v4
	v_fmac_f16_e32 v4, v30, v0
	v_pack_b32_f16 v0, v1, v5
	v_lshrrev_b32_e32 v5, 16, v29
	s_delay_alu instid0(VALU_DEP_3)
	v_pack_b32_f16 v1, v4, v6
	v_lshrrev_b32_e32 v4, 16, v36
	ds_store_2addr_b32 v169, v0, v1 offset0:47 offset1:182
	global_load_b32 v0, v[16:17], off
	global_load_b32 v1, v[2:3], off
	s_clause 0x3
	scratch_store_b32 off, v4, off offset:76
	scratch_store_b32 off, v29, off
	scratch_store_b32 off, v5, off offset:4
	scratch_store_b32 off, v36, off offset:72
	s_load_b128 s[8:11], s[10:11], 0x0
	s_waitcnt lgkmcnt(0)
	s_mul_hi_u32 s12, s8, 0x654
	s_mul_i32 s13, s8, 0x654
	s_waitcnt vmcnt(1)
	v_lshrrev_b32_e32 v2, 16, v0
	v_mul_f16_e32 v3, v4, v0
	s_delay_alu instid0(VALU_DEP_1) | instskip(SKIP_3) | instid1(VALU_DEP_2)
	v_fma_f16 v3, v36, v2, -v3
	v_mul_f16_e32 v2, v4, v2
	s_waitcnt vmcnt(0)
	v_mul_f16_e32 v4, v5, v1
	v_fmac_f16_e32 v2, v36, v0
	v_lshrrev_b32_e32 v0, 16, v1
	s_delay_alu instid0(VALU_DEP_1) | instskip(SKIP_1) | instid1(VALU_DEP_1)
	v_fma_f16 v4, v29, v0, -v4
	v_mul_f16_e32 v0, v5, v0
	v_fmac_f16_e32 v0, v29, v1
	v_pack_b32_f16 v1, v2, v3
	v_lshrrev_b32_e32 v3, 16, v41
	scratch_store_b32 off, v41, off offset:80 ; 4-byte Folded Spill
	v_pack_b32_f16 v0, v0, v4
	scratch_store_b32 off, v3, off offset:84 ; 4-byte Folded Spill
	ds_store_2addr_b32 v156, v1, v0 offset0:68 offset1:203
	global_load_b32 v0, v[18:19], off
	s_waitcnt vmcnt(0)
	v_lshrrev_b32_e32 v1, 16, v0
	v_mul_f16_e32 v2, v3, v0
	s_delay_alu instid0(VALU_DEP_1) | instskip(SKIP_1) | instid1(VALU_DEP_1)
	v_fma_f16 v2, v41, v1, -v2
	v_mul_f16_e32 v1, v3, v1
	v_fmac_f16_e32 v1, v41, v0
	s_delay_alu instid0(VALU_DEP_1)
	v_pack_b32_f16 v0, v1, v2
	ds_store_b32 v175, v0 offset:1080
	s_waitcnt lgkmcnt(0)
	s_waitcnt_vscnt null, 0x0
	s_barrier
	buffer_gl0_inv
	ds_load_2addr_b32 v[19:20], v183 offset0:42 offset1:177
	ds_load_2addr_b32 v[21:22], v180 offset0:84 offset1:219
	;; [unrolled: 1-line block ×8, first 2 shown]
	s_waitcnt lgkmcnt(7)
	v_lshrrev_b32_e32 v16, 16, v19
	s_waitcnt lgkmcnt(6)
	v_sub_f16_e32 v0, v19, v21
	s_waitcnt lgkmcnt(4)
	v_sub_f16_e32 v1, v27, v29
	s_waitcnt lgkmcnt(3)
	v_lshrrev_b32_e32 v12, 16, v3
	s_waitcnt lgkmcnt(2)
	v_lshrrev_b32_e32 v14, 16, v9
	;; [unrolled: 2-line block ×4, first 2 shown]
	v_add_f16_e32 v32, v0, v1
	v_sub_f16_e32 v0, v3, v9
	v_sub_f16_e32 v1, v5, v7
	v_lshrrev_b32_e32 v18, 16, v21
	v_lshrrev_b32_e32 v17, 16, v29
	;; [unrolled: 1-line block ×3, first 2 shown]
	v_add_f16_e32 v10, v9, v7
	v_add_f16_e32 v33, v0, v1
	v_sub_f16_e32 v0, v12, v14
	v_sub_f16_e32 v1, v15, v13
	;; [unrolled: 1-line block ×6, first 2 shown]
	v_add_f16_e32 v34, v0, v1
	v_sub_f16_e32 v0, v16, v18
	v_sub_f16_e32 v1, v54, v17
	;; [unrolled: 1-line block ×5, first 2 shown]
	s_delay_alu instid0(VALU_DEP_4)
	v_add_f16_e32 v36, v0, v1
	ds_load_2addr_b32 v[0:1], v184 offset0:14 offset1:149
	s_waitcnt lgkmcnt(0)
	v_fma_f16 v35, -0.5, v10, v1
	v_lshrrev_b32_e32 v55, 16, v1
	v_add_f16_e32 v10, v14, v13
	v_add_f16_e32 v31, v1, v3
	s_delay_alu instid0(VALU_DEP_2) | instskip(SKIP_1) | instid1(VALU_DEP_3)
	v_fma_f16 v37, -0.5, v10, v55
	v_fmamk_f16 v10, v40, 0x3b9c, v35
	v_add_f16_e32 v44, v31, v9
	v_sub_f16_e32 v9, v9, v3
	v_add_f16_e32 v3, v3, v5
	v_fmamk_f16 v11, v41, 0xbb9c, v37
	v_fmac_f16_e32 v10, 0x38b4, v38
	v_add_f16_e32 v47, v44, v7
	v_add_f16_e32 v44, v55, v12
	v_fma_f16 v1, -0.5, v3, v1
	v_fmac_f16_e32 v11, 0xb8b4, v39
	v_fmac_f16_e32 v10, 0x34f2, v33
	v_sub_f16_e32 v7, v7, v5
	v_add_f16_e32 v50, v44, v14
	v_sub_f16_e32 v14, v14, v12
	v_fmac_f16_e32 v11, 0x34f2, v34
	v_mul_f16_e32 v43, 0x3a79, v10
	v_mul_f16_e32 v42, 0xb8b4, v10
	v_add_f16_e32 v12, v12, v15
	v_fmamk_f16 v3, v38, 0xbb9c, v1
	v_fmac_f16_e32 v1, 0x3b9c, v38
	v_fmac_f16_e32 v43, 0x38b4, v11
	;; [unrolled: 1-line block ×3, first 2 shown]
	ds_load_2addr_b32 v[10:11], v175 offset1:135
	v_add_f16_e32 v7, v9, v7
	v_fmac_f16_e32 v55, -0.5, v12
	v_fmac_f16_e32 v3, 0x38b4, v40
	v_fmac_f16_e32 v1, 0xb8b4, v40
	;; [unrolled: 1-line block ×4, first 2 shown]
	s_delay_alu instid0(VALU_DEP_4) | instskip(NEXT) | instid1(VALU_DEP_4)
	v_fmac_f16_e32 v3, 0x34f2, v7
	v_fmac_f16_e32 v1, 0x34f2, v7
	v_fmamk_f16 v7, v39, 0x3b9c, v55
	v_fmac_f16_e32 v55, 0xbb9c, v39
	v_fmac_f16_e32 v35, 0xb8b4, v38
	;; [unrolled: 1-line block ×3, first 2 shown]
	s_delay_alu instid0(VALU_DEP_4) | instskip(NEXT) | instid1(VALU_DEP_4)
	v_fmac_f16_e32 v7, 0xb8b4, v41
	v_fmac_f16_e32 v55, 0x38b4, v41
	s_delay_alu instid0(VALU_DEP_4) | instskip(NEXT) | instid1(VALU_DEP_4)
	v_fmac_f16_e32 v35, 0x34f2, v33
	v_fmac_f16_e32 v37, 0x34f2, v34
	v_sub_f16_e32 v34, v20, v28
	s_waitcnt lgkmcnt(0)
	v_add_f16_e32 v23, v10, v19
	s_delay_alu instid0(VALU_DEP_1) | instskip(SKIP_1) | instid1(VALU_DEP_2)
	v_add_f16_e32 v24, v23, v21
	v_add_f16_e32 v23, v21, v29
	;; [unrolled: 1-line block ×3, first 2 shown]
	v_lshrrev_b32_e32 v24, 16, v10
	s_delay_alu instid0(VALU_DEP_3) | instskip(NEXT) | instid1(VALU_DEP_3)
	v_fma_f16 v23, -0.5, v23, v10
	v_add_f16_e32 v44, v45, v27
	s_delay_alu instid0(VALU_DEP_3) | instskip(NEXT) | instid1(VALU_DEP_3)
	v_add_f16_e32 v31, v24, v16
	v_fmamk_f16 v52, v49, 0x3b9c, v23
	v_add_f16_e32 v45, v47, v5
	v_add_f16_e32 v47, v50, v13
	v_sub_f16_e32 v50, v21, v29
	v_add_f16_e32 v46, v31, v18
	v_add_f16_e32 v31, v18, v17
	v_sub_f16_e32 v13, v13, v15
	v_fmac_f16_e32 v52, 0x38b4, v48
	v_add_f16_e32 v47, v47, v15
	v_add_f16_e32 v46, v46, v17
	v_fma_f16 v31, -0.5, v31, v24
	v_add_f16_e32 v12, v14, v13
	v_add_f16_e32 v13, v19, v27
	v_fmac_f16_e32 v52, 0x34f2, v32
	v_add_f16_e32 v46, v46, v54
	v_fmamk_f16 v53, v51, 0xbb9c, v31
	v_add_f16_e32 v56, v44, v45
	v_sub_f16_e32 v21, v21, v19
	v_sub_f16_e32 v29, v29, v27
	v_add_f16_e32 v57, v46, v47
	v_fmac_f16_e32 v53, 0xb8b4, v50
	v_sub_f16_e32 v18, v18, v16
	v_add_f16_e32 v16, v16, v54
	v_fma_f16 v27, -0.5, v13, v10
	v_pack_b32_f16 v56, v56, v57
	v_fmac_f16_e32 v53, 0x34f2, v36
	v_add_f16_e32 v57, v52, v43
	v_add_f16_e32 v21, v21, v29
	v_fmac_f16_e32 v24, -0.5, v16
	v_fmamk_f16 v29, v48, 0xbb9c, v27
	v_add_f16_e32 v58, v53, v42
	v_fmac_f16_e32 v27, 0x3b9c, v48
	v_fmac_f16_e32 v55, 0x34f2, v12
	v_sub_f16_e32 v17, v17, v54
	v_fmac_f16_e32 v29, 0x38b4, v49
	v_pack_b32_f16 v57, v57, v58
	v_fmac_f16_e32 v27, 0xb8b4, v49
	v_fmamk_f16 v5, v50, 0x3b9c, v24
	v_fmac_f16_e32 v24, 0xbb9c, v50
	v_mul_f16_e32 v58, 0xb4f2, v55
	v_add_f16_e32 v9, v18, v17
	v_fmac_f16_e32 v29, 0x34f2, v21
	v_fmac_f16_e32 v27, 0x34f2, v21
	;; [unrolled: 1-line block ×4, first 2 shown]
	v_mul_f16_e32 v21, 0xb4f2, v1
	v_fmac_f16_e32 v58, 0xbb9c, v1
	v_mul_f16_e32 v1, 0xbb9c, v3
	v_fmac_f16_e32 v5, 0xb8b4, v51
	v_fmac_f16_e32 v24, 0x34f2, v9
	;; [unrolled: 1-line block ×3, first 2 shown]
	v_sub_f16_e32 v42, v53, v42
	v_fmac_f16_e32 v1, 0x34f2, v7
	v_mul_f16_e32 v7, 0x3b9c, v7
	v_fmac_f16_e32 v5, 0x34f2, v9
	v_add_f16_e32 v9, v24, v58
	v_fmac_f16_e32 v23, 0xbb9c, v49
	v_fmac_f16_e32 v31, 0x3b9c, v51
	;; [unrolled: 1-line block ×3, first 2 shown]
	v_add_f16_e32 v3, v27, v21
	s_delay_alu instid0(VALU_DEP_4) | instskip(NEXT) | instid1(VALU_DEP_4)
	v_fmac_f16_e32 v23, 0xb8b4, v48
	v_fmac_f16_e32 v31, 0x38b4, v50
	s_delay_alu instid0(VALU_DEP_3)
	v_pack_b32_f16 v55, v3, v9
	v_add_f16_e32 v3, v5, v1
	v_add_f16_e32 v9, v29, v7
	v_sub_f16_e32 v1, v5, v1
	v_sub_f16_e32 v5, v29, v7
	v_fmac_f16_e32 v23, 0x34f2, v32
	v_fmac_f16_e32 v31, 0x34f2, v36
	v_pack_b32_f16 v54, v9, v3
	v_mul_lo_u16 v3, v89, 10
	ds_load_2addr_b32 v[9:10], v153 offset0:28 offset1:163
	ds_load_2addr_b32 v[12:13], v212 offset0:70 offset1:205
	;; [unrolled: 1-line block ×5, first 2 shown]
	s_waitcnt lgkmcnt(0)
	s_barrier
	buffer_gl0_inv
	v_and_b32_e32 v3, 0xffff, v3
	v_sub_f16_e32 v7, v46, v47
	s_delay_alu instid0(VALU_DEP_2)
	v_lshlrev_b32_e32 v3, 2, v3
	ds_store_2addr_b64 v3, v[56:57], v[54:55] offset1:1
	v_mov_b32_e32 v54, v3
	v_sub_f16_e32 v3, v52, v43
	v_pack_b32_f16 v43, v5, v1
	v_mul_f16_e32 v1, 0xba79, v35
	v_sub_f16_e32 v5, v44, v45
	v_lshrrev_b32_e32 v36, 16, v18
	v_pack_b32_f16 v42, v3, v42
	v_mul_f16_e32 v3, 0xba79, v37
	v_fmac_f16_e32 v1, 0x38b4, v37
	v_pack_b32_f16 v33, v5, v7
	v_sub_f16_e32 v5, v27, v21
	v_sub_f16_e32 v7, v24, v58
	v_fmac_f16_e32 v3, 0xb8b4, v35
	v_add_f16_e32 v29, v23, v1
	v_sub_f16_e32 v1, v23, v1
	v_lshrrev_b32_e32 v23, 16, v22
	v_sub_f16_e32 v24, v20, v22
	v_add_f16_e32 v32, v31, v3
	v_sub_f16_e32 v3, v31, v3
	v_sub_f16_e32 v27, v28, v30
	v_add_f16_e32 v21, v20, v28
	v_lshrrev_b32_e32 v37, 16, v16
	v_pack_b32_f16 v32, v29, v32
	v_sub_f16_e32 v29, v22, v30
	v_lshrrev_b32_e32 v39, 16, v12
	v_lshrrev_b32_e32 v40, 16, v14
	v_sub_f16_e32 v51, v18, v16
	ds_store_2addr_b64 v54, v[32:33], v[42:43] offset0:2 offset1:3
	v_pack_b32_f16 v33, v1, v3
	v_add_f16_e32 v1, v11, v20
	v_pack_b32_f16 v32, v5, v7
	v_sub_f16_e32 v5, v22, v20
	v_sub_f16_e32 v7, v30, v28
	v_add_f16_e32 v3, v22, v30
	v_add_f16_e32 v1, v1, v22
	ds_store_b64 v54, v[32:33] offset:32
	v_lshrrev_b32_e32 v22, 16, v30
	v_add_f16_e32 v5, v5, v7
	v_sub_f16_e32 v7, v18, v12
	v_add_f16_e32 v1, v1, v30
	v_lshrrev_b32_e32 v30, 16, v20
	v_sub_f16_e32 v20, v16, v14
	v_fma_f16 v3, -0.5, v3, v11
	v_sub_f16_e32 v42, v23, v22
	v_add_f16_e32 v35, v1, v28
	v_lshrrev_b32_e32 v28, 16, v28
	v_lshrrev_b32_e32 v1, 16, v11
	v_fmac_f16_e32 v11, -0.5, v21
	v_add_f16_e32 v7, v7, v20
	v_lshrrev_b32_e32 v20, 16, v9
	v_add_f16_e32 v21, v36, v37
	v_sub_f16_e32 v44, v30, v28
	v_fmamk_f16 v43, v42, 0xbb9c, v11
	v_fmac_f16_e32 v11, 0x3b9c, v42
	v_add_f16_e32 v41, v20, v39
	v_fma_f16 v38, -0.5, v21, v20
	v_add_f16_e32 v21, v39, v40
	v_sub_f16_e32 v31, v37, v40
	v_fmac_f16_e32 v11, 0xb8b4, v44
	v_fmac_f16_e32 v43, 0x38b4, v44
	v_add_f16_e32 v45, v1, v30
	v_fmac_f16_e32 v20, -0.5, v21
	v_sub_f16_e32 v21, v36, v39
	v_fmac_f16_e32 v11, 0x34f2, v5
	v_fmac_f16_e32 v43, 0x34f2, v5
	v_add_f16_e32 v5, v23, v22
	v_sub_f16_e32 v46, v22, v28
	v_add_f16_e32 v21, v21, v31
	v_add_f16_e32 v31, v30, v28
	v_sub_f16_e32 v48, v36, v37
	v_fma_f16 v5, -0.5, v5, v1
	v_fmamk_f16 v52, v51, 0x3b9c, v20
	v_fmac_f16_e32 v20, 0xbb9c, v51
	v_fmac_f16_e32 v1, -0.5, v31
	v_sub_f16_e32 v31, v23, v30
	v_sub_f16_e32 v53, v12, v14
	;; [unrolled: 1-line block ×3, first 2 shown]
	v_add_f16_e32 v24, v24, v27
	v_add_f16_e32 v27, v45, v23
	;; [unrolled: 1-line block ×3, first 2 shown]
	v_fmamk_f16 v46, v29, 0x3b9c, v1
	v_fmac_f16_e32 v1, 0xbb9c, v29
	v_fmac_f16_e32 v20, 0x38b4, v53
	;; [unrolled: 1-line block ×3, first 2 shown]
	v_sub_f16_e32 v23, v30, v23
	v_fmac_f16_e32 v46, 0xb8b4, v34
	v_fmac_f16_e32 v1, 0x38b4, v34
	;; [unrolled: 1-line block ×4, first 2 shown]
	v_add_f16_e32 v27, v27, v22
	v_fmac_f16_e32 v46, 0x34f2, v31
	v_fmac_f16_e32 v1, 0x34f2, v31
	v_add_f16_e32 v31, v12, v14
	v_sub_f16_e32 v22, v28, v22
	v_add_f16_e32 v45, v27, v28
	v_sub_f16_e32 v27, v40, v37
	scratch_store_b32 off, v54, off offset:248 ; 4-byte Folded Spill
	v_fma_f16 v47, -0.5, v31, v9
	v_add_f16_e32 v30, v23, v22
	v_sub_f16_e32 v22, v12, v18
	v_sub_f16_e32 v23, v14, v16
	v_add_f16_e32 v32, v13, v15
	v_fmamk_f16 v49, v48, 0xbb9c, v47
	v_fmac_f16_e32 v47, 0x3b9c, v48
	s_delay_alu instid0(VALU_DEP_2) | instskip(NEXT) | instid1(VALU_DEP_2)
	v_fmac_f16_e32 v49, 0x38b4, v50
	v_fmac_f16_e32 v47, 0xb8b4, v50
	s_delay_alu instid0(VALU_DEP_2) | instskip(NEXT) | instid1(VALU_DEP_2)
	v_fmac_f16_e32 v49, 0x34f2, v7
	v_fmac_f16_e32 v47, 0x34f2, v7
	v_mul_f16_e32 v7, 0xb4f2, v20
	s_delay_alu instid0(VALU_DEP_2) | instskip(NEXT) | instid1(VALU_DEP_2)
	v_mul_f16_e32 v31, 0xb4f2, v47
	v_fmac_f16_e32 v7, 0xbb9c, v47
	v_mul_f16_e32 v47, 0x3b9c, v52
	s_delay_alu instid0(VALU_DEP_3) | instskip(NEXT) | instid1(VALU_DEP_3)
	v_fmac_f16_e32 v31, 0x3b9c, v20
	v_add_f16_e32 v21, v1, v7
	s_delay_alu instid0(VALU_DEP_3)
	v_fmac_f16_e32 v47, 0x34f2, v49
	v_mul_f16_e32 v49, 0xbb9c, v49
	v_sub_f16_e32 v1, v1, v7
	v_add_f16_e32 v20, v11, v31
	v_sub_f16_e32 v11, v11, v31
	v_sub_f16_e32 v7, v2, v8
	v_fmac_f16_e32 v49, 0x34f2, v52
	v_lshrrev_b32_e32 v31, 16, v13
	v_pack_b32_f16 v21, v20, v21
	v_add_f16_e32 v20, v43, v47
	v_pack_b32_f16 v11, v11, v1
	v_add_f16_e32 v52, v46, v49
	v_add_f16_e32 v1, v0, v2
	s_delay_alu instid0(VALU_DEP_2) | instskip(SKIP_4) | instid1(VALU_DEP_3)
	v_pack_b32_f16 v20, v20, v52
	v_add_f16_e32 v52, v22, v23
	v_add_f16_e32 v22, v41, v36
	v_sub_f16_e32 v23, v39, v36
	v_add_f16_e32 v1, v1, v8
	v_add_f16_e32 v22, v22, v37
	s_delay_alu instid0(VALU_DEP_3)
	v_add_f16_e32 v36, v23, v27
	v_fmamk_f16 v23, v53, 0xbb9c, v38
	v_fmac_f16_e32 v38, 0x3b9c, v53
	v_add_f16_e32 v1, v1, v6
	v_add_f16_e32 v37, v22, v40
	;; [unrolled: 1-line block ×3, first 2 shown]
	v_fmac_f16_e32 v23, 0xb8b4, v51
	v_fmac_f16_e32 v38, 0x38b4, v51
	s_delay_alu instid0(VALU_DEP_3)
	v_fma_f16 v39, -0.5, v22, v9
	v_add_f16_e32 v9, v9, v12
	v_fmamk_f16 v12, v44, 0x3b9c, v3
	v_fmac_f16_e32 v23, 0x34f2, v36
	v_fmac_f16_e32 v3, 0xbb9c, v44
	v_fmamk_f16 v22, v50, 0x3b9c, v39
	v_add_f16_e32 v9, v9, v18
	v_fmamk_f16 v18, v34, 0xbb9c, v5
	v_fmac_f16_e32 v12, 0x38b4, v42
	v_fmac_f16_e32 v39, 0xbb9c, v50
	v_fmac_f16_e32 v22, 0x38b4, v48
	v_add_f16_e32 v9, v9, v16
	v_fmac_f16_e32 v18, 0xb8b4, v29
	v_fmac_f16_e32 v12, 0x34f2, v24
	;; [unrolled: 1-line block ×4, first 2 shown]
	v_add_f16_e32 v14, v9, v14
	v_fmac_f16_e32 v18, 0x34f2, v30
	v_fmac_f16_e32 v5, 0x3b9c, v34
	;; [unrolled: 1-line block ×3, first 2 shown]
	v_mul_f16_e32 v27, 0x3a79, v22
	v_mul_f16_e32 v28, 0xb8b4, v22
	v_fmac_f16_e32 v38, 0x34f2, v36
	v_fmac_f16_e32 v3, 0xb8b4, v42
	;; [unrolled: 1-line block ×5, first 2 shown]
	v_lshrrev_b32_e32 v42, 16, v0
	v_fmac_f16_e32 v3, 0x34f2, v24
	v_fmac_f16_e32 v5, 0x34f2, v30
	v_add_f16_e32 v9, v12, v27
	v_add_f16_e32 v16, v18, v28
	s_delay_alu instid0(VALU_DEP_1) | instskip(SKIP_3) | instid1(VALU_DEP_2)
	v_pack_b32_f16 v23, v9, v16
	v_add_f16_e32 v9, v35, v14
	v_add_f16_e32 v16, v45, v37
	v_sub_f16_e32 v14, v35, v14
	v_pack_b32_f16 v22, v9, v16
	v_sub_f16_e32 v9, v12, v27
	v_sub_f16_e32 v12, v43, v47
	;; [unrolled: 1-line block ×4, first 2 shown]
	s_delay_alu instid0(VALU_DEP_2) | instskip(NEXT) | instid1(VALU_DEP_2)
	v_pack_b32_f16 v27, v9, v16
	v_pack_b32_f16 v28, v12, v18
	v_mul_f16_e32 v9, 0xba79, v39
	v_mul_f16_e32 v12, 0xba79, v38
	v_sub_f16_e32 v16, v45, v37
	s_delay_alu instid0(VALU_DEP_3) | instskip(NEXT) | instid1(VALU_DEP_3)
	v_fmac_f16_e32 v9, 0x38b4, v38
	v_fmac_f16_e32 v12, 0xb8b4, v39
	s_delay_alu instid0(VALU_DEP_3) | instskip(SKIP_1) | instid1(VALU_DEP_4)
	v_pack_b32_f16 v30, v14, v16
	v_sub_f16_e32 v16, v4, v6
	v_add_f16_e32 v18, v3, v9
	s_delay_alu instid0(VALU_DEP_4)
	v_add_f16_e32 v24, v5, v12
	v_sub_f16_e32 v3, v3, v9
	v_sub_f16_e32 v9, v8, v2
	;; [unrolled: 1-line block ×3, first 2 shown]
	v_add_f16_e32 v7, v7, v16
	v_pack_b32_f16 v29, v18, v24
	v_add_co_u32 v18, s2, 0x87, v177
	v_lshrrev_b32_e32 v24, 16, v19
	v_pack_b32_f16 v12, v3, v5
	v_lshrrev_b32_e32 v3, 16, v8
	s_delay_alu instid0(VALU_DEP_4) | instskip(SKIP_3) | instid1(VALU_DEP_4)
	v_mul_u32_u24_e32 v14, 10, v18
	v_add_f16_e32 v5, v8, v6
	v_sub_f16_e32 v8, v8, v6
	v_add_co_ci_u32_e64 v36, null, 0, 0, s2
	v_lshlrev_b32_e32 v197, 2, v14
	ds_store_2addr_b64 v197, v[22:23], v[20:21] offset1:1
	ds_store_2addr_b64 v197, v[29:30], v[27:28] offset0:2 offset1:3
	v_add_f16_e32 v23, v1, v4
	v_add_f16_e32 v1, v10, v13
	v_lshrrev_b32_e32 v20, 16, v2
	v_add_f16_e32 v21, v2, v4
	v_sub_f16_e32 v22, v2, v4
	v_add_f16_e32 v2, v19, v17
	v_add_f16_e32 v1, v1, v19
	v_sub_f16_e32 v27, v13, v19
	v_sub_f16_e32 v28, v19, v13
	v_sub_f16_e32 v19, v19, v17
	v_lshrrev_b32_e32 v29, 16, v17
	v_add_f16_e32 v1, v1, v17
	v_sub_f16_e32 v30, v15, v17
	v_sub_f16_e32 v17, v17, v15
	;; [unrolled: 1-line block ×3, first 2 shown]
	v_fma_f16 v34, -0.5, v2, v10
	v_add_f16_e32 v33, v1, v15
	v_lshrrev_b32_e32 v15, 16, v15
	v_lshrrev_b32_e32 v1, 16, v10
	v_add_f16_e32 v2, v28, v17
	v_add_f16_e32 v17, v24, v29
	v_fmac_f16_e32 v10, -0.5, v32
	v_add_f16_e32 v28, v31, v15
	v_add_f16_e32 v32, v1, v31
	v_sub_f16_e32 v35, v29, v15
	v_fma_f16 v17, -0.5, v17, v1
	v_sub_f16_e32 v37, v24, v29
	v_fmac_f16_e32 v1, -0.5, v28
	v_sub_f16_e32 v28, v24, v31
	v_lshrrev_b32_e32 v14, 16, v6
	v_sub_f16_e32 v6, v6, v4
	v_fmamk_f16 v38, v37, 0xbb9c, v10
	v_fmac_f16_e32 v10, 0x3b9c, v37
	v_add_f16_e32 v28, v28, v35
	v_fmamk_f16 v35, v19, 0x3b9c, v1
	v_fmac_f16_e32 v1, 0xbb9c, v19
	v_sub_f16_e32 v39, v31, v15
	v_lshrrev_b32_e32 v4, 16, v4
	v_fma_f16 v41, -0.5, v5, v0
	v_fmac_f16_e32 v0, -0.5, v21
	v_fmac_f16_e32 v1, 0x38b4, v13
	v_fmac_f16_e32 v10, 0xb8b4, v39
	v_add_f16_e32 v5, v9, v6
	v_sub_f16_e32 v9, v3, v14
	v_sub_f16_e32 v21, v20, v4
	v_fmac_f16_e32 v1, 0x34f2, v28
	v_fmac_f16_e32 v10, 0x34f2, v2
	v_sub_f16_e32 v44, v14, v4
	v_fmamk_f16 v6, v9, 0xbb9c, v0
	v_fmac_f16_e32 v0, 0x3b9c, v9
	v_mul_f16_e32 v40, 0xb4f2, v1
	v_fmac_f16_e32 v35, 0xb8b4, v13
	v_fmac_f16_e32 v38, 0x38b4, v39
	;; [unrolled: 1-line block ×5, first 2 shown]
	v_mul_f16_e32 v10, 0xb4f2, v10
	v_fmac_f16_e32 v35, 0x34f2, v28
	v_fmac_f16_e32 v6, 0x34f2, v5
	;; [unrolled: 1-line block ×3, first 2 shown]
	v_add_f16_e32 v5, v42, v20
	v_fmac_f16_e32 v10, 0x3b9c, v1
	v_add_f16_e32 v1, v3, v14
	v_fmac_f16_e32 v38, 0x34f2, v2
	v_mul_f16_e32 v28, 0x3b9c, v35
	v_add_f16_e32 v5, v5, v3
	ds_store_b64 v197, v[11:12] offset:32
	v_fma_f16 v43, -0.5, v1, v42
	v_add_f16_e32 v1, v20, v4
	v_fmac_f16_e32 v28, 0x34f2, v38
	v_add_f16_e32 v5, v5, v14
	v_sub_f16_e32 v14, v4, v14
	v_mul_f16_e32 v38, 0xbb9c, v38
	v_fmac_f16_e32 v42, -0.5, v1
	v_sub_f16_e32 v1, v3, v20
	v_sub_f16_e32 v3, v20, v3
	v_add_f16_e32 v16, v5, v4
	v_sub_f16_e32 v4, v31, v24
	v_sub_f16_e32 v5, v15, v29
	v_add_f16_e32 v20, v27, v30
	v_add_f16_e32 v14, v3, v14
	;; [unrolled: 1-line block ×5, first 2 shown]
	v_fmamk_f16 v4, v13, 0xbb9c, v17
	v_fmamk_f16 v44, v8, 0x3b9c, v42
	v_add_f16_e32 v3, v3, v29
	v_fmac_f16_e32 v42, 0xbb9c, v8
	v_fmamk_f16 v29, v21, 0x3b9c, v41
	v_fmac_f16_e32 v4, 0xb8b4, v19
	v_fmamk_f16 v30, v22, 0xbb9c, v43
	v_add_f16_e32 v15, v3, v15
	v_fmamk_f16 v3, v39, 0x3b9c, v34
	v_fmac_f16_e32 v42, 0x38b4, v22
	v_fmac_f16_e32 v4, 0x34f2, v24
	;; [unrolled: 1-line block ×14, first 2 shown]
	v_mul_f16_e32 v5, 0x3a79, v3
	v_mul_f16_e32 v27, 0xb8b4, v3
	v_fmac_f16_e32 v44, 0x34f2, v1
	v_fmac_f16_e32 v38, 0x34f2, v35
	v_add_f16_e32 v1, v0, v10
	v_fmac_f16_e32 v5, 0x38b4, v4
	v_fmac_f16_e32 v27, 0x3a79, v4
	v_add_f16_e32 v2, v42, v40
	;; [unrolled: 3-line block ×3, first 2 shown]
	v_sub_f16_e32 v5, v29, v5
	v_sub_f16_e32 v11, v30, v27
	v_fmac_f16_e32 v34, 0x34f2, v20
	v_fmac_f16_e32 v17, 0x34f2, v24
	v_pack_b32_f16 v2, v1, v2
	v_add_f16_e32 v1, v6, v28
	v_sub_f16_e32 v6, v6, v28
	v_sub_f16_e32 v12, v44, v38
	v_pack_b32_f16 v5, v5, v11
	v_fmac_f16_e32 v41, 0xb8b4, v9
	v_fmac_f16_e32 v43, 0x38b4, v8
	v_mul_f16_e32 v9, 0xba79, v34
	v_mul_f16_e32 v11, 0xba79, v17
	v_add_f16_e32 v4, v30, v27
	v_pack_b32_f16 v6, v6, v12
	v_sub_f16_e32 v8, v23, v33
	v_sub_f16_e32 v12, v16, v15
	v_fmac_f16_e32 v41, 0x34f2, v7
	v_fmac_f16_e32 v43, 0x34f2, v14
	;; [unrolled: 1-line block ×4, first 2 shown]
	v_add_f16_e32 v35, v44, v38
	v_pack_b32_f16 v4, v3, v4
	v_add_f16_e32 v3, v23, v33
	v_add_f16_e32 v31, v16, v15
	v_pack_b32_f16 v8, v8, v12
	v_mul_u32_u24_e32 v12, 10, v73
	v_add_f16_e32 v7, v41, v9
	v_add_f16_e32 v13, v43, v11
	v_pack_b32_f16 v1, v1, v35
	v_pack_b32_f16 v3, v3, v31
	v_lshlrev_b32_e32 v196, 2, v12
	v_sub_f16_e32 v0, v0, v10
	v_pack_b32_f16 v7, v7, v13
	ds_store_2addr_b64 v196, v[3:4], v[1:2] offset1:1
	ds_store_2addr_b64 v196, v[7:8], v[5:6] offset0:2 offset1:3
	v_sub_f16_e32 v1, v41, v9
	v_sub_f16_e32 v2, v43, v11
	;; [unrolled: 1-line block ×3, first 2 shown]
	v_and_b32_e32 v37, 0xff, v89
	v_add_co_u32 v90, s2, 0x195, v177
	s_delay_alu instid0(VALU_DEP_4) | instskip(NEXT) | instid1(VALU_DEP_4)
	v_pack_b32_f16 v1, v1, v2
	v_pack_b32_f16 v0, v0, v3
	v_add_co_ci_u32_e64 v69, null, 0, 0, s2
	ds_store_b64 v196, v[0:1] offset:32
	v_and_b32_e32 v0, 0xffff, v18
	s_waitcnt lgkmcnt(0)
	s_waitcnt_vscnt null, 0x0
	s_barrier
	buffer_gl0_inv
	v_mul_u32_u24_e32 v0, 0xcccd, v0
	s_delay_alu instid0(VALU_DEP_1) | instskip(SKIP_1) | instid1(VALU_DEP_2)
	v_lshrrev_b32_e32 v38, 19, v0
	v_mul_lo_u16 v0, 0xcd, v37
	v_mul_lo_u16 v1, v38, 10
	s_delay_alu instid0(VALU_DEP_2) | instskip(NEXT) | instid1(VALU_DEP_2)
	v_lshrrev_b16 v0, 11, v0
	v_sub_nc_u16 v39, v18, v1
	s_delay_alu instid0(VALU_DEP_2) | instskip(SKIP_1) | instid1(VALU_DEP_3)
	v_mul_lo_u16 v1, v0, 10
	v_and_b32_e32 v0, 0xffff, v0
	v_lshlrev_b16 v2, 2, v39
	s_delay_alu instid0(VALU_DEP_3) | instskip(NEXT) | instid1(VALU_DEP_3)
	v_sub_nc_u16 v1, v89, v1
	v_mul_u32_u24_e32 v0, 50, v0
	s_delay_alu instid0(VALU_DEP_3) | instskip(NEXT) | instid1(VALU_DEP_3)
	v_and_b32_e32 v2, 0xffff, v2
	v_and_b32_e32 v1, 0xff, v1
	s_delay_alu instid0(VALU_DEP_2) | instskip(NEXT) | instid1(VALU_DEP_2)
	v_lshlrev_b32_e32 v2, 2, v2
	v_lshlrev_b32_e32 v3, 4, v1
	s_clause 0x1
	global_load_b128 v[120:123], v3, s[6:7]
	global_load_b128 v[124:127], v2, s[6:7]
	ds_load_2addr_b32 v[28:29], v183 offset0:42 offset1:177
	ds_load_2addr_b32 v[30:31], v180 offset0:84 offset1:219
	;; [unrolled: 1-line block ×4, first 2 shown]
	v_add_lshl_u32 v190, v0, v1, 2
	s_waitcnt lgkmcnt(3)
	v_lshrrev_b32_e32 v2, 16, v28
	s_waitcnt lgkmcnt(1)
	v_lshrrev_b32_e32 v23, 16, v35
	s_waitcnt vmcnt(1)
	v_lshrrev_b32_e32 v3, 16, v120
	v_lshrrev_b32_e32 v4, 16, v121
	;; [unrolled: 1-line block ×4, first 2 shown]
	s_waitcnt vmcnt(0)
	v_lshrrev_b32_e32 v157, 16, v124
	v_mul_f16_e32 v43, v28, v3
	v_mul_f16_e32 v44, v30, v4
	;; [unrolled: 1-line block ×3, first 2 shown]
	s_waitcnt lgkmcnt(0)
	v_mul_f16_e32 v49, v32, v6
	v_lshrrev_b32_e32 v163, 16, v125
	v_fmac_f16_e32 v43, v2, v120
	v_mul_f16_e32 v2, v2, v3
	v_lshrrev_b32_e32 v3, 16, v30
	v_lshrrev_b32_e32 v159, 16, v126
	;; [unrolled: 1-line block ×3, first 2 shown]
	v_mul_f16_e64 v22, v31, v163
	v_fma_f16 v52, v28, v120, -v2
	ds_load_2addr_b32 v[27:28], v175 offset1:135
	v_fmac_f16_e32 v44, v3, v121
	v_mul_f16_e32 v3, v3, v4
	v_lshrrev_b32_e32 v4, 16, v34
	s_delay_alu instid0(VALU_DEP_2) | instskip(NEXT) | instid1(VALU_DEP_2)
	v_fma_f16 v53, v30, v121, -v3
	v_fmac_f16_e32 v46, v4, v122
	v_mul_f16_e32 v4, v4, v5
	v_lshrrev_b32_e32 v5, 16, v32
	s_delay_alu instid0(VALU_DEP_4) | instskip(NEXT) | instid1(VALU_DEP_4)
	v_sub_f16_e32 v2, v52, v53
	v_sub_f16_e32 v45, v44, v46
	s_delay_alu instid0(VALU_DEP_4) | instskip(NEXT) | instid1(VALU_DEP_4)
	v_fma_f16 v54, v34, v122, -v4
	v_fmac_f16_e32 v49, v5, v123
	v_mul_f16_e32 v5, v5, v6
	s_delay_alu instid0(VALU_DEP_3)
	v_sub_f16_e32 v47, v53, v54
	s_waitcnt lgkmcnt(0)
	v_lshrrev_b32_e32 v51, 16, v27
	v_add_f16_e32 v0, v27, v52
	v_fma_f16 v55, v32, v123, -v5
	v_sub_f16_e32 v48, v43, v49
	s_delay_alu instid0(VALU_DEP_4) | instskip(NEXT) | instid1(VALU_DEP_4)
	v_add_f16_e32 v1, v51, v43
	v_add_f16_e32 v0, v0, v53
	s_delay_alu instid0(VALU_DEP_4) | instskip(SKIP_1) | instid1(VALU_DEP_4)
	v_sub_f16_e32 v3, v55, v54
	v_sub_f16_e32 v50, v52, v55
	v_add_f16_e32 v1, v1, v44
	s_delay_alu instid0(VALU_DEP_4) | instskip(NEXT) | instid1(VALU_DEP_4)
	v_add_f16_e32 v0, v0, v54
	v_add_f16_e32 v34, v2, v3
	v_sub_f16_e32 v2, v43, v44
	v_sub_f16_e32 v3, v49, v46
	v_add_f16_e32 v1, v1, v46
	v_add_f16_e32 v0, v0, v55
	s_delay_alu instid0(VALU_DEP_3) | instskip(NEXT) | instid1(VALU_DEP_3)
	v_add_f16_e32 v40, v2, v3
	v_add_f16_e32 v1, v1, v49
	s_delay_alu instid0(VALU_DEP_1) | instskip(SKIP_1) | instid1(VALU_DEP_1)
	v_pack_b32_f16 v56, v0, v1
	v_add_f16_e32 v0, v53, v54
	v_fma_f16 v41, -0.5, v0, v27
	v_add_f16_e32 v0, v44, v46
	s_delay_alu instid0(VALU_DEP_1) | instskip(NEXT) | instid1(VALU_DEP_3)
	v_fma_f16 v42, -0.5, v0, v51
	v_fmamk_f16 v0, v48, 0x3b9c, v41
	v_fmac_f16_e32 v41, 0xbb9c, v48
	s_delay_alu instid0(VALU_DEP_3) | instskip(NEXT) | instid1(VALU_DEP_3)
	v_fmamk_f16 v1, v50, 0xbb9c, v42
	v_fmac_f16_e32 v0, 0x38b4, v45
	v_fmac_f16_e32 v42, 0x3b9c, v50
	s_delay_alu instid0(VALU_DEP_4) | instskip(NEXT) | instid1(VALU_DEP_4)
	v_fmac_f16_e32 v41, 0xb8b4, v45
	v_fmac_f16_e32 v1, 0xb8b4, v47
	s_delay_alu instid0(VALU_DEP_4) | instskip(NEXT) | instid1(VALU_DEP_4)
	;; [unrolled: 3-line block ×3, first 2 shown]
	v_fmac_f16_e32 v41, 0x34f2, v34
	v_fmac_f16_e32 v1, 0x34f2, v40
	s_delay_alu instid0(VALU_DEP_3) | instskip(NEXT) | instid1(VALU_DEP_2)
	v_fmac_f16_e32 v42, 0x34f2, v40
	v_pack_b32_f16 v57, v0, v1
	v_and_b32_e32 v0, 0xffff, v73
	s_delay_alu instid0(VALU_DEP_1) | instskip(NEXT) | instid1(VALU_DEP_1)
	v_mul_u32_u24_e32 v0, 0xcccd, v0
	v_lshrrev_b32_e32 v30, 19, v0
	s_delay_alu instid0(VALU_DEP_1) | instskip(NEXT) | instid1(VALU_DEP_1)
	v_mul_lo_u16 v0, v30, 10
	v_sub_nc_u16 v32, v73, v0
	v_and_b32_e32 v0, 0xffff, v90
	s_delay_alu instid0(VALU_DEP_2) | instskip(NEXT) | instid1(VALU_DEP_2)
	v_lshlrev_b16 v1, 2, v32
	v_mul_u32_u24_e32 v0, 0xcccd, v0
	s_delay_alu instid0(VALU_DEP_2) | instskip(NEXT) | instid1(VALU_DEP_2)
	v_and_b32_e32 v1, 0xffff, v1
	v_lshrrev_b32_e32 v4, 19, v0
	v_and_b32_e32 v0, 0xffff, v149
	s_delay_alu instid0(VALU_DEP_3) | instskip(NEXT) | instid1(VALU_DEP_3)
	v_lshlrev_b32_e32 v16, 2, v1
	v_mul_lo_u16 v2, v4, 10
	s_delay_alu instid0(VALU_DEP_3) | instskip(NEXT) | instid1(VALU_DEP_2)
	v_mul_u32_u24_e32 v0, 0xcccd, v0
	v_sub_nc_u16 v5, v90, v2
	s_delay_alu instid0(VALU_DEP_2) | instskip(SKIP_1) | instid1(VALU_DEP_3)
	v_lshrrev_b32_e32 v6, 19, v0
	v_and_b32_e32 v0, 0xffff, v148
	v_lshlrev_b16 v2, 2, v5
	v_mad_u16 v4, v4, 50, v5
	s_delay_alu instid0(VALU_DEP_3) | instskip(NEXT) | instid1(VALU_DEP_3)
	v_mul_u32_u24_e32 v0, 0xcccd, v0
	v_and_b32_e32 v2, 0xffff, v2
	s_delay_alu instid0(VALU_DEP_3) | instskip(NEXT) | instid1(VALU_DEP_3)
	v_and_b32_e32 v4, 0xffff, v4
	v_lshrrev_b32_e32 v7, 19, v0
	v_mul_lo_u16 v0, v6, 10
	s_delay_alu instid0(VALU_DEP_4) | instskip(NEXT) | instid1(VALU_DEP_4)
	v_lshlrev_b32_e32 v17, 2, v2
	v_lshlrev_b32_e32 v224, 2, v4
	s_delay_alu instid0(VALU_DEP_3) | instskip(SKIP_1) | instid1(VALU_DEP_2)
	v_sub_nc_u16 v14, v149, v0
	v_mul_lo_u16 v0, v7, 10
	v_mad_u16 v6, v6, 50, v14
	s_delay_alu instid0(VALU_DEP_2) | instskip(SKIP_1) | instid1(VALU_DEP_3)
	v_sub_nc_u16 v15, v148, v0
	v_lshlrev_b16 v0, 2, v14
	v_and_b32_e32 v6, 0xffff, v6
	s_delay_alu instid0(VALU_DEP_3) | instskip(NEXT) | instid1(VALU_DEP_3)
	v_lshlrev_b16 v3, 2, v15
	v_and_b32_e32 v0, 0xffff, v0
	s_delay_alu instid0(VALU_DEP_3) | instskip(NEXT) | instid1(VALU_DEP_3)
	v_lshlrev_b32_e32 v227, 2, v6
	v_and_b32_e32 v3, 0xffff, v3
	s_delay_alu instid0(VALU_DEP_3) | instskip(NEXT) | instid1(VALU_DEP_2)
	v_lshlrev_b32_e32 v19, 2, v0
	v_lshlrev_b32_e32 v20, 2, v3
	ds_load_2addr_b32 v[0:1], v184 offset0:14 offset1:149
	ds_load_2addr_b32 v[2:3], v182 offset0:56 offset1:191
	ds_load_2addr_b32 v[8:9], v178 offset0:98 offset1:233
	ds_load_2addr_b32 v[10:11], v174 offset0:12 offset1:147
	ds_load_2addr_b32 v[12:13], v167 offset0:54 offset1:189
	ds_load_2addr_b32 v[58:59], v153 offset0:28 offset1:163
	ds_load_2addr_b32 v[60:61], v212 offset0:70 offset1:205
	ds_load_2addr_b32 v[62:63], v189 offset0:112 offset1:247
	ds_load_2addr_b32 v[64:65], v179 offset0:26 offset1:161
	ds_load_2addr_b32 v[66:67], v156 offset0:68 offset1:203
	s_clause 0x3
	global_load_b128 v[239:242], v16, s[6:7]
	global_load_b128 v[94:97], v17, s[6:7]
	global_load_b128 v[109:112], v19, s[6:7]
	global_load_b128 v[201:204], v20, s[6:7]
	v_add_f16_e32 v19, v52, v55
	v_sub_f16_e32 v16, v53, v52
	v_sub_f16_e32 v17, v54, v55
	;; [unrolled: 1-line block ×3, first 2 shown]
	s_waitcnt vmcnt(0) lgkmcnt(0)
	v_fma_f16 v19, -0.5, v19, v27
	s_barrier
	v_add_f16_e32 v16, v16, v17
	v_add_f16_e32 v17, v43, v49
	buffer_gl0_inv
	v_fmamk_f16 v21, v45, 0xbb9c, v19
	v_fmac_f16_e32 v19, 0x3b9c, v45
	v_mul_f16_e64 v27, v35, v159
	v_fmac_f16_e32 v51, -0.5, v17
	v_sub_f16_e32 v17, v44, v43
	v_fmac_f16_e32 v21, 0x38b4, v48
	v_fmac_f16_e32 v19, 0xb8b4, v48
	;; [unrolled: 1-line block ×3, first 2 shown]
	ds_store_2addr_b32 v190, v56, v57 offset1:10
	v_fmac_f16_e32 v21, 0x34f2, v16
	v_fmac_f16_e32 v19, 0x34f2, v16
	v_add_f16_e32 v16, v17, v20
	v_fmamk_f16 v17, v47, 0x3b9c, v51
	v_fmac_f16_e32 v51, 0xbb9c, v47
	s_delay_alu instid0(VALU_DEP_2) | instskip(NEXT) | instid1(VALU_DEP_2)
	v_fmac_f16_e32 v17, 0xb8b4, v50
	v_fmac_f16_e32 v51, 0x38b4, v50
	s_delay_alu instid0(VALU_DEP_2) | instskip(NEXT) | instid1(VALU_DEP_2)
	v_fmac_f16_e32 v17, 0x34f2, v16
	v_fmac_f16_e32 v51, 0x34f2, v16
	s_delay_alu instid0(VALU_DEP_2) | instskip(NEXT) | instid1(VALU_DEP_2)
	v_pack_b32_f16 v16, v21, v17
	v_pack_b32_f16 v17, v19, v51
	v_mul_f16_e64 v19, v29, v157
	ds_store_2addr_b32 v190, v16, v17 offset0:20 offset1:30
	v_lshrrev_b32_e32 v16, 16, v29
	s_delay_alu instid0(VALU_DEP_1) | instskip(SKIP_2) | instid1(VALU_DEP_3)
	v_mul_f16_e64 v17, v16, v157
	v_fmac_f16_e32 v19, v16, v124
	v_lshrrev_b32_e32 v16, 16, v31
	v_fma_f16 v17, v29, v124, -v17
	v_lshrrev_b32_e32 v29, 16, v33
	s_delay_alu instid0(VALU_DEP_3) | instskip(SKIP_1) | instid1(VALU_DEP_2)
	v_mul_f16_e64 v20, v16, v163
	v_fmac_f16_e32 v22, v16, v125
	v_fma_f16 v21, v31, v125, -v20
	v_mul_f16_e64 v20, v23, v159
	v_mul_f16_e64 v31, v29, v158
	s_delay_alu instid0(VALU_DEP_3) | instskip(NEXT) | instid1(VALU_DEP_3)
	v_sub_f16_e32 v16, v17, v21
	v_fma_f16 v24, v35, v126, -v20
	s_delay_alu instid0(VALU_DEP_3) | instskip(SKIP_2) | instid1(VALU_DEP_4)
	v_fma_f16 v31, v33, v127, -v31
	v_mul_f16_e64 v33, v33, v158
	v_lshrrev_b32_e32 v35, 16, v28
	v_sub_f16_e32 v45, v21, v24
	s_delay_alu instid0(VALU_DEP_4) | instskip(NEXT) | instid1(VALU_DEP_4)
	v_sub_f16_e32 v23, v31, v24
	v_fmac_f16_e32 v33, v29, v127
	v_sub_f16_e32 v29, v19, v22
	v_sub_f16_e32 v43, v17, v31
	s_delay_alu instid0(VALU_DEP_4)
	v_add_f16_e32 v16, v16, v23
	v_pack_b32_f16 v23, v41, v42
	v_sub_f16_e32 v34, v33, v27
	v_sub_f16_e32 v41, v22, v27
	v_add_f16_e32 v42, v22, v27
	ds_store_b32 v190, v23 offset:160
	v_add_f16_e32 v29, v29, v34
	v_mad_u16 v23, v38, 50, v39
	v_add_f16_e32 v34, v28, v17
	v_add_f16_e32 v38, v35, v19
	v_sub_f16_e32 v39, v19, v33
	v_fma_f16 v42, -0.5, v42, v35
	v_and_b32_e32 v23, 0xffff, v23
	v_add_f16_e32 v34, v34, v21
	v_add_f16_e32 v38, v38, v22
	v_sub_f16_e32 v22, v22, v19
	v_add_f16_e32 v19, v19, v33
	v_lshlrev_b32_e32 v219, 2, v23
	v_add_f16_e32 v34, v34, v24
	v_add_f16_e32 v38, v38, v27
	v_sub_f16_e32 v23, v24, v31
	v_fmac_f16_e32 v35, -0.5, v19
	v_fmamk_f16 v44, v43, 0xbb9c, v42
	v_add_f16_e32 v34, v34, v31
	v_add_f16_e32 v38, v38, v33
	v_fmac_f16_e32 v42, 0x3b9c, v43
	s_delay_alu instid0(VALU_DEP_4) | instskip(NEXT) | instid1(VALU_DEP_3)
	v_fmac_f16_e32 v44, 0xb8b4, v45
	v_pack_b32_f16 v34, v34, v38
	v_add_f16_e32 v38, v21, v24
	v_sub_f16_e32 v21, v21, v17
	v_add_f16_e32 v17, v17, v31
	v_sub_f16_e32 v24, v27, v33
	v_fmac_f16_e32 v42, 0x38b4, v45
	v_fma_f16 v38, -0.5, v38, v28
	v_fmac_f16_e32 v44, 0x34f2, v29
	v_fmac_f16_e32 v28, -0.5, v17
	v_add_f16_e32 v17, v21, v23
	v_add_f16_e32 v19, v22, v24
	v_fmamk_f16 v22, v45, 0x3b9c, v35
	v_fmac_f16_e32 v35, 0xbb9c, v45
	v_fmamk_f16 v21, v41, 0xbb9c, v28
	v_fmac_f16_e32 v28, 0x3b9c, v41
	;; [unrolled: 2-line block ×3, first 2 shown]
	v_fmac_f16_e32 v35, 0x38b4, v43
	v_fmac_f16_e32 v21, 0x38b4, v39
	;; [unrolled: 1-line block ×10, first 2 shown]
	v_lshrrev_b32_e32 v19, 16, v8
	v_pack_b32_f16 v17, v21, v22
	v_pack_b32_f16 v23, v28, v35
	v_fmac_f16_e32 v40, 0x34f2, v16
	v_fmac_f16_e32 v38, 0x34f2, v16
	v_lshrrev_b32_e32 v16, 16, v2
	v_lshrrev_b32_e32 v22, 16, v10
	ds_store_2addr_b32 v219, v17, v23 offset0:20 offset1:30
	v_lshrrev_b32_e32 v24, 16, v12
	v_lshrrev_b32_e32 v28, 16, v0
	v_fmac_f16_e32 v42, 0x34f2, v29
	v_pack_b32_f16 v40, v40, v44
	ds_store_2addr_b32 v219, v34, v40 offset1:10
	v_lshrrev_b32_e32 v133, 16, v239
	v_lshrrev_b32_e32 v188, 16, v240
	;; [unrolled: 1-line block ×5, first 2 shown]
	v_mul_f16_e64 v17, v2, v133
	v_mul_f16_e64 v21, v8, v188
	;; [unrolled: 1-line block ×4, first 2 shown]
	v_lshrrev_b32_e32 v145, 16, v95
	v_fmac_f16_e64 v17, v16, v239
	v_mul_f16_e64 v16, v16, v133
	v_fmac_f16_e64 v21, v19, v240
	v_fmac_f16_e64 v23, v22, v241
	v_mul_f16_e64 v22, v22, v187
	v_fmac_f16_e64 v27, v24, v242
	v_mul_f16_e64 v24, v24, v152
	v_mul_f16_e64 v19, v19, v188
	v_fma_f16 v2, v2, v239, -v16
	v_fma_f16 v10, v10, v241, -v22
	v_sub_f16_e32 v22, v17, v21
	v_fma_f16 v12, v12, v242, -v24
	v_sub_f16_e32 v24, v27, v23
	v_fma_f16 v8, v8, v240, -v19
	v_add_f16_e32 v29, v28, v17
	v_add_f16_e32 v33, v21, v23
	v_sub_f16_e32 v19, v12, v10
	v_add_f16_e32 v22, v22, v24
	v_add_f16_e32 v24, v0, v2
	;; [unrolled: 1-line block ×3, first 2 shown]
	v_sub_f16_e32 v16, v2, v8
	v_sub_f16_e32 v34, v2, v12
	v_fma_f16 v33, -0.5, v33, v28
	v_add_f16_e32 v24, v24, v8
	v_add_f16_e32 v29, v29, v23
	;; [unrolled: 1-line block ×3, first 2 shown]
	v_pack_b32_f16 v19, v38, v42
	v_sub_f16_e32 v38, v8, v10
	v_add_f16_e32 v24, v24, v10
	v_add_f16_e32 v29, v29, v27
	v_lshrrev_b32_e32 v147, 16, v96
	ds_store_b32 v219, v19 offset:160
	v_mad_u16 v19, v30, 50, v32
	v_add_f16_e32 v24, v24, v12
	v_sub_f16_e32 v32, v21, v23
	v_sub_f16_e32 v30, v17, v27
	v_lshrrev_b32_e32 v154, 16, v97
	v_and_b32_e32 v19, 0xffff, v19
	v_pack_b32_f16 v24, v24, v29
	v_add_f16_e32 v29, v8, v10
	v_sub_f16_e32 v8, v8, v2
	v_add_f16_e32 v2, v2, v12
	v_sub_f16_e32 v10, v10, v12
	v_sub_f16_e32 v12, v23, v27
	v_fma_f16 v29, -0.5, v29, v0
	v_lshlrev_b32_e32 v222, 2, v19
	v_fma_f16 v0, -0.5, v2, v0
	v_add_f16_e32 v8, v8, v10
	v_add_f16_e32 v10, v17, v27
	v_fmamk_f16 v31, v30, 0x3b9c, v29
	v_fmamk_f16 v35, v34, 0xbb9c, v33
	;; [unrolled: 1-line block ×3, first 2 shown]
	v_fmac_f16_e32 v0, 0x3b9c, v32
	v_fmac_f16_e32 v28, -0.5, v10
	v_sub_f16_e32 v10, v21, v17
	v_lshrrev_b32_e32 v17, 16, v13
	v_fmac_f16_e32 v2, 0x38b4, v30
	v_fmac_f16_e32 v0, 0xb8b4, v30
	;; [unrolled: 1-line block ×4, first 2 shown]
	v_mul_f16_e64 v19, v17, v154
	v_fmac_f16_e32 v2, 0x34f2, v8
	v_fmac_f16_e32 v0, 0x34f2, v8
	v_add_f16_e32 v8, v10, v12
	v_fmamk_f16 v10, v38, 0x3b9c, v28
	v_fmac_f16_e32 v28, 0xbb9c, v38
	v_fma_f16 v19, v13, v97, -v19
	v_fmac_f16_e32 v29, 0xb8b4, v32
	v_fmac_f16_e32 v33, 0x38b4, v38
	;; [unrolled: 1-line block ×4, first 2 shown]
	v_mul_f16_e64 v13, v13, v154
	v_fmac_f16_e32 v29, 0x34f2, v16
	v_fmac_f16_e32 v33, 0x34f2, v22
	;; [unrolled: 1-line block ×7, first 2 shown]
	v_pack_b32_f16 v2, v2, v10
	v_pack_b32_f16 v0, v0, v28
	v_lshrrev_b32_e32 v10, 16, v11
	v_fmac_f16_e32 v31, 0x34f2, v16
	v_fmac_f16_e32 v35, 0x34f2, v22
	v_lshrrev_b32_e32 v146, 16, v109
	ds_store_2addr_b32 v222, v2, v0 offset0:20 offset1:30
	v_lshrrev_b32_e32 v0, 16, v3
	v_mul_f16_e64 v12, v10, v147
	v_pack_b32_f16 v31, v31, v35
	v_lshrrev_b32_e32 v132, 16, v110
	v_lshrrev_b32_e32 v140, 16, v111
	v_mul_f16_e64 v2, v0, v128
	v_fma_f16 v12, v11, v96, -v12
	v_mul_f16_e64 v11, v11, v147
	ds_store_2addr_b32 v222, v24, v31 offset1:10
	v_lshrrev_b32_e32 v142, 16, v112
	v_fma_f16 v2, v3, v94, -v2
	v_mul_f16_e64 v3, v3, v128
	v_fmac_f16_e32 v11, v10, v96
	v_sub_f16_e32 v10, v19, v12
	v_lshrrev_b32_e32 v114, 16, v201
	v_add_f16_e32 v5, v1, v2
	v_fmac_f16_e32 v3, v0, v94
	v_lshrrev_b32_e32 v0, 16, v9
	v_sub_f16_e32 v17, v13, v11
	v_sub_f16_e32 v27, v2, v19
	v_lshrrev_b32_e32 v117, 16, v202
	v_sub_f16_e32 v21, v3, v13
	v_mul_f16_e64 v8, v0, v145
	v_lshrrev_b32_e32 v131, 16, v203
	v_lshrrev_b32_e32 v113, 16, v204
	s_delay_alu instid0(VALU_DEP_3) | instskip(SKIP_1) | instid1(VALU_DEP_2)
	v_fma_f16 v8, v9, v95, -v8
	v_mul_f16_e64 v9, v9, v145
	v_add_f16_e32 v5, v5, v8
	s_delay_alu instid0(VALU_DEP_2)
	v_fmac_f16_e32 v9, v0, v95
	v_sub_f16_e32 v0, v2, v8
	v_sub_f16_e32 v4, v8, v2
	v_add_f16_e32 v2, v2, v19
	v_add_f16_e32 v5, v5, v12
	v_sub_f16_e32 v16, v3, v9
	v_add_f16_e32 v0, v0, v10
	v_pack_b32_f16 v10, v29, v33
	v_add_f16_e32 v24, v9, v11
	v_add_f16_e32 v5, v5, v19
	;; [unrolled: 1-line block ×3, first 2 shown]
	v_sub_f16_e32 v23, v9, v11
	ds_store_b32 v222, v10 offset:160
	v_lshrrev_b32_e32 v10, 16, v1
	v_sub_f16_e32 v29, v8, v12
	s_delay_alu instid0(VALU_DEP_2) | instskip(SKIP_1) | instid1(VALU_DEP_2)
	v_add_f16_e32 v17, v10, v3
	v_fma_f16 v24, -0.5, v24, v10
	v_add_f16_e32 v17, v17, v9
	s_delay_alu instid0(VALU_DEP_2) | instskip(SKIP_1) | instid1(VALU_DEP_3)
	v_fmamk_f16 v28, v27, 0xbb9c, v24
	v_fmac_f16_e32 v24, 0x3b9c, v27
	v_add_f16_e32 v17, v17, v11
	s_delay_alu instid0(VALU_DEP_3) | instskip(NEXT) | instid1(VALU_DEP_3)
	v_fmac_f16_e32 v28, 0xb8b4, v29
	v_fmac_f16_e32 v24, 0x38b4, v29
	s_delay_alu instid0(VALU_DEP_3) | instskip(NEXT) | instid1(VALU_DEP_3)
	v_add_f16_e32 v17, v17, v13
	v_fmac_f16_e32 v28, 0x34f2, v16
	s_delay_alu instid0(VALU_DEP_3) | instskip(NEXT) | instid1(VALU_DEP_3)
	v_fmac_f16_e32 v24, 0x34f2, v16
	v_pack_b32_f16 v5, v5, v17
	v_add_f16_e32 v17, v8, v12
	v_sub_f16_e32 v8, v9, v3
	v_add_f16_e32 v3, v3, v13
	v_sub_f16_e32 v9, v11, v13
	s_delay_alu instid0(VALU_DEP_4) | instskip(SKIP_1) | instid1(VALU_DEP_4)
	v_fma_f16 v17, -0.5, v17, v1
	v_fmac_f16_e32 v1, -0.5, v2
	v_fmac_f16_e32 v10, -0.5, v3
	s_delay_alu instid0(VALU_DEP_4) | instskip(SKIP_4) | instid1(VALU_DEP_3)
	v_add_f16_e32 v3, v8, v9
	v_lshrrev_b32_e32 v8, 16, v66
	v_fmamk_f16 v22, v21, 0x3b9c, v17
	v_fmac_f16_e32 v17, 0xbb9c, v21
	v_mul_f16_e64 v9, v66, v142
	v_fmac_f16_e32 v22, 0x38b4, v23
	s_delay_alu instid0(VALU_DEP_3) | instskip(NEXT) | instid1(VALU_DEP_3)
	v_fmac_f16_e32 v17, 0xb8b4, v23
	v_fmac_f16_e32 v9, v8, v112
	v_mul_f16_e64 v8, v8, v142
	s_delay_alu instid0(VALU_DEP_4) | instskip(NEXT) | instid1(VALU_DEP_4)
	v_fmac_f16_e32 v22, 0x34f2, v0
	v_fmac_f16_e32 v17, 0x34f2, v0
	v_lshrrev_b32_e32 v0, 16, v60
	s_delay_alu instid0(VALU_DEP_4) | instskip(NEXT) | instid1(VALU_DEP_4)
	v_fma_f16 v8, v66, v112, -v8
	v_pack_b32_f16 v22, v22, v28
	ds_store_2addr_b32 v224, v5, v22 offset1:10
	v_sub_f16_e32 v5, v12, v19
	s_delay_alu instid0(VALU_DEP_1) | instskip(SKIP_4) | instid1(VALU_DEP_4)
	v_add_f16_e32 v2, v4, v5
	v_fmamk_f16 v4, v23, 0xbb9c, v1
	v_fmac_f16_e32 v1, 0x3b9c, v23
	v_fmamk_f16 v5, v29, 0x3b9c, v10
	v_fmac_f16_e32 v10, 0xbb9c, v29
	v_fmac_f16_e32 v4, 0x38b4, v21
	s_delay_alu instid0(VALU_DEP_4) | instskip(NEXT) | instid1(VALU_DEP_4)
	v_fmac_f16_e32 v1, 0xb8b4, v21
	v_fmac_f16_e32 v5, 0xb8b4, v27
	s_delay_alu instid0(VALU_DEP_4) | instskip(NEXT) | instid1(VALU_DEP_4)
	;; [unrolled: 3-line block ×3, first 2 shown]
	v_fmac_f16_e32 v1, 0x34f2, v2
	v_fmac_f16_e32 v5, 0x34f2, v3
	s_delay_alu instid0(VALU_DEP_4) | instskip(SKIP_1) | instid1(VALU_DEP_3)
	v_fmac_f16_e32 v10, 0x34f2, v3
	v_mul_f16_e64 v3, v62, v132
	v_pack_b32_f16 v2, v4, v5
	s_delay_alu instid0(VALU_DEP_3)
	v_pack_b32_f16 v1, v1, v10
	v_lshrrev_b32_e32 v4, 16, v64
	v_mul_f16_e64 v5, v64, v140
	ds_store_2addr_b32 v224, v2, v1 offset0:20 offset1:30
	v_mul_f16_e64 v1, v60, v146
	v_lshrrev_b32_e32 v2, 16, v62
	v_fmac_f16_e32 v5, v4, v111
	v_mul_f16_e64 v4, v4, v140
	s_delay_alu instid0(VALU_DEP_4)
	v_fmac_f16_e32 v1, v0, v109
	v_mul_f16_e64 v0, v0, v146
	v_fmac_f16_e32 v3, v2, v110
	v_mul_f16_e64 v2, v2, v132
	v_fma_f16 v4, v64, v111, -v4
	v_sub_f16_e32 v13, v9, v5
	v_fma_f16 v0, v60, v109, -v0
	v_sub_f16_e32 v12, v1, v3
	;; [unrolled: 2-line block ×3, first 2 shown]
	v_sub_f16_e32 v19, v3, v5
	v_sub_f16_e32 v22, v0, v8
	v_add_f16_e32 v12, v12, v13
	v_sub_f16_e32 v10, v0, v2
	v_lshrrev_b32_e32 v13, 16, v58
	v_add_f16_e32 v21, v3, v5
	v_sub_f16_e32 v16, v1, v9
	s_delay_alu instid0(VALU_DEP_4)
	v_add_f16_e32 v10, v10, v11
	v_pack_b32_f16 v11, v17, v24
	v_add_f16_e32 v14, v13, v1
	v_sub_f16_e32 v24, v2, v4
	v_fma_f16 v21, -0.5, v21, v13
	ds_store_b32 v224, v11 offset:160
	v_add_f16_e32 v11, v58, v0
	v_add_f16_e32 v14, v14, v3
	v_fmamk_f16 v23, v22, 0xbb9c, v21
	v_fmac_f16_e32 v21, 0x3b9c, v22
	s_delay_alu instid0(VALU_DEP_4) | instskip(NEXT) | instid1(VALU_DEP_4)
	v_add_f16_e32 v11, v11, v2
	v_add_f16_e32 v14, v14, v5
	s_delay_alu instid0(VALU_DEP_4) | instskip(NEXT) | instid1(VALU_DEP_4)
	v_fmac_f16_e32 v23, 0xb8b4, v24
	v_fmac_f16_e32 v21, 0x38b4, v24
	s_delay_alu instid0(VALU_DEP_4) | instskip(NEXT) | instid1(VALU_DEP_4)
	v_add_f16_e32 v11, v11, v4
	v_add_f16_e32 v14, v14, v9
	s_delay_alu instid0(VALU_DEP_4) | instskip(NEXT) | instid1(VALU_DEP_4)
	v_fmac_f16_e32 v23, 0x34f2, v12
	v_fmac_f16_e32 v21, 0x34f2, v12
	s_delay_alu instid0(VALU_DEP_4) | instskip(NEXT) | instid1(VALU_DEP_1)
	v_add_f16_e32 v11, v11, v8
	v_pack_b32_f16 v11, v11, v14
	v_add_f16_e32 v14, v2, v4
	v_sub_f16_e32 v2, v2, v0
	v_sub_f16_e32 v4, v4, v8
	v_add_f16_e32 v0, v0, v8
	v_mul_f16_e64 v8, v65, v131
	v_fma_f16 v14, -0.5, v14, v58
	s_delay_alu instid0(VALU_DEP_4)
	v_add_f16_e32 v2, v2, v4
	v_add_f16_e32 v4, v1, v9
	v_fma_f16 v0, -0.5, v0, v58
	v_sub_f16_e32 v1, v3, v1
	v_sub_f16_e32 v3, v5, v9
	v_fmamk_f16 v17, v16, 0x3b9c, v14
	v_fmac_f16_e32 v13, -0.5, v4
	v_fmamk_f16 v4, v19, 0xbb9c, v0
	v_fmac_f16_e32 v0, 0x3b9c, v19
	v_add_f16_e32 v1, v1, v3
	v_fmac_f16_e32 v17, 0x38b4, v19
	v_lshrrev_b32_e32 v5, 16, v65
	v_fmac_f16_e32 v4, 0x38b4, v16
	v_fmac_f16_e32 v0, 0xb8b4, v16
	v_lshrrev_b32_e32 v9, 16, v67
	v_fmac_f16_e32 v17, 0x34f2, v10
	v_mul_f16_e64 v6, v5, v131
	v_fmac_f16_e32 v4, 0x34f2, v2
	v_fmac_f16_e32 v0, 0x34f2, v2
	v_fmamk_f16 v2, v24, 0x3b9c, v13
	v_fmac_f16_e32 v13, 0xbb9c, v24
	v_pack_b32_f16 v17, v17, v23
	v_fmac_f16_e32 v14, 0xbb9c, v16
	v_fma_f16 v6, v65, v203, -v6
	v_fmac_f16_e32 v2, 0xb8b4, v22
	v_fmac_f16_e32 v13, 0x38b4, v22
	ds_store_2addr_b32 v227, v11, v17 offset1:10
	v_mul_f16_e32 v11, v9, v113
	v_fmac_f16_e32 v14, 0xb8b4, v19
	v_fmac_f16_e32 v2, 0x34f2, v1
	v_fmac_f16_e32 v13, 0x34f2, v1
	v_fmac_f16_e64 v8, v5, v203
	v_fma_f16 v11, v67, v204, -v11
	v_fmac_f16_e32 v14, 0x34f2, v10
	v_pack_b32_f16 v1, v4, v2
	v_pack_b32_f16 v0, v0, v13
	v_mul_f16_e32 v2, v61, v114
	v_mul_f16_e32 v4, v63, v117
	;; [unrolled: 1-line block ×3, first 2 shown]
	v_sub_f16_e32 v5, v11, v6
	ds_store_2addr_b32 v227, v1, v0 offset0:20 offset1:30
	v_lshrrev_b32_e32 v0, 16, v61
	v_fmac_f16_e64 v13, v9, v204
	s_delay_alu instid0(VALU_DEP_2) | instskip(SKIP_2) | instid1(VALU_DEP_4)
	v_mul_f16_e32 v1, v0, v114
	v_fmac_f16_e64 v2, v0, v201
	v_lshrrev_b32_e32 v0, 16, v63
	v_sub_f16_e32 v10, v13, v8
	s_delay_alu instid0(VALU_DEP_4) | instskip(NEXT) | instid1(VALU_DEP_3)
	v_fma_f16 v1, v61, v201, -v1
	v_mul_f16_e32 v3, v0, v117
	v_fmac_f16_e64 v4, v0, v202
	s_delay_alu instid0(VALU_DEP_3) | instskip(NEXT) | instid1(VALU_DEP_3)
	v_sub_f16_e32 v19, v1, v11
	v_fma_f16 v3, v63, v202, -v3
	s_delay_alu instid0(VALU_DEP_3) | instskip(SKIP_2) | instid1(VALU_DEP_4)
	v_sub_f16_e32 v9, v2, v4
	v_add_f16_e32 v17, v4, v8
	v_sub_f16_e32 v16, v4, v8
	v_sub_f16_e32 v0, v1, v3
	s_delay_alu instid0(VALU_DEP_4) | instskip(SKIP_2) | instid1(VALU_DEP_4)
	v_add_f16_e32 v9, v9, v10
	v_lshrrev_b32_e32 v10, 16, v59
	v_sub_f16_e32 v22, v3, v6
	v_add_f16_e32 v0, v0, v5
	v_pack_b32_f16 v5, v14, v21
	s_delay_alu instid0(VALU_DEP_4)
	v_add_f16_e32 v12, v10, v2
	v_sub_f16_e32 v14, v2, v13
	v_fma_f16 v17, -0.5, v17, v10
	ds_store_b32 v227, v5 offset:160
	v_mad_u16 v5, v7, 50, v15
	v_add_f16_e32 v7, v59, v1
	v_add_f16_e32 v12, v12, v4
	v_fmamk_f16 v21, v19, 0xbb9c, v17
	v_fmac_f16_e32 v17, 0x3b9c, v19
	v_and_b32_e32 v5, 0xffff, v5
	v_add_f16_e32 v7, v7, v3
	v_add_f16_e32 v12, v12, v8
	v_fmac_f16_e32 v21, 0xb8b4, v22
	v_fmac_f16_e32 v17, 0x38b4, v22
	v_sub_f16_e32 v4, v4, v2
	v_add_f16_e32 v7, v7, v6
	v_add_f16_e32 v12, v12, v13
	;; [unrolled: 1-line block ×3, first 2 shown]
	v_fmac_f16_e32 v17, 0x34f2, v9
	v_fmac_f16_e32 v21, 0x34f2, v9
	v_add_f16_e32 v7, v7, v11
	v_lshlrev_b32_e32 v233, 2, v5
	v_sub_f16_e32 v5, v6, v11
	v_fmac_f16_e32 v10, -0.5, v2
	s_delay_alu instid0(VALU_DEP_4) | instskip(SKIP_4) | instid1(VALU_DEP_4)
	v_pack_b32_f16 v7, v7, v12
	v_add_f16_e32 v12, v3, v6
	v_sub_f16_e32 v3, v3, v1
	v_add_f16_e32 v1, v1, v11
	v_sub_f16_e32 v6, v8, v13
	v_fma_f16 v12, -0.5, v12, v59
	s_delay_alu instid0(VALU_DEP_3) | instskip(NEXT) | instid1(VALU_DEP_3)
	v_fmac_f16_e32 v59, -0.5, v1
	v_add_f16_e32 v2, v4, v6
	v_lshrrev_b16 v6, 1, v73
	s_delay_alu instid0(VALU_DEP_4)
	v_fmamk_f16 v15, v14, 0x3b9c, v12
	v_fmac_f16_e32 v12, 0xbb9c, v14
	v_add_f16_e32 v1, v3, v5
	v_fmamk_f16 v3, v16, 0xbb9c, v59
	v_fmac_f16_e32 v59, 0x3b9c, v16
	v_fmac_f16_e32 v15, 0x38b4, v16
	;; [unrolled: 1-line block ×3, first 2 shown]
	v_fmamk_f16 v4, v22, 0x3b9c, v10
	v_fmac_f16_e32 v10, 0xbb9c, v22
	v_and_b32_e32 v6, 0xffff, v6
	v_fmac_f16_e32 v15, 0x34f2, v0
	v_fmac_f16_e32 v12, 0x34f2, v0
	;; [unrolled: 1-line block ×5, first 2 shown]
	v_pack_b32_f16 v15, v15, v21
	v_pack_b32_f16 v0, v12, v17
	v_fmac_f16_e32 v4, 0xb8b4, v19
	v_mul_u32_u24_e32 v8, 0x147b, v6
	v_fmac_f16_e32 v59, 0x34f2, v1
	ds_store_2addr_b32 v233, v7, v15 offset1:10
	ds_store_b32 v233, v0 offset:160
	v_lshrrev_b16 v0, 1, v18
	v_lshrrev_b16 v7, 1, v90
	v_fmac_f16_e32 v10, 0x34f2, v2
	v_fmac_f16_e32 v3, 0x34f2, v1
	;; [unrolled: 1-line block ×3, first 2 shown]
	v_and_b32_e32 v0, 0xffff, v0
	v_and_b32_e32 v7, 0xffff, v7
	v_lshrrev_b32_e32 v12, 17, v8
	v_pack_b32_f16 v5, v59, v10
	v_pack_b32_f16 v1, v3, v4
	v_mul_u32_u24_e32 v0, 0x147b, v0
	v_mul_u32_u24_e32 v8, 0x147b, v7
	ds_store_2addr_b32 v233, v1, v5 offset0:20 offset1:30
	v_lshrrev_b32_e32 v0, 17, v0
	v_lshrrev_b32_e32 v13, 17, v8
	v_mul_lo_u16 v8, v12, 50
	v_mul_lo_u16 v1, v37, 41
	s_waitcnt lgkmcnt(0)
	v_mul_lo_u16 v2, v0, 50
	s_barrier
	v_sub_nc_u16 v16, v73, v8
	v_mul_lo_u16 v8, v13, 50
	v_lshrrev_b16 v1, 11, v1
	v_sub_nc_u16 v4, v18, v2
	buffer_gl0_inv
	v_sub_nc_u16 v17, v90, v8
	v_mul_lo_u16 v2, v1, 50
	v_lshlrev_b16 v3, 3, v4
	v_lshlrev_b16 v8, 3, v16
	v_and_b32_e32 v1, 0xffff, v1
	v_lshlrev_b16 v9, 3, v17
	v_sub_nc_u16 v2, v89, v2
	v_and_b32_e32 v3, 0xffff, v3
	v_and_b32_e32 v8, 0xffff, v8
	v_mul_u32_u24_e32 v1, 0x96, v1
	v_and_b32_e32 v10, 0xffff, v9
	v_and_b32_e32 v5, 0xff, v2
	v_add_co_u32 v2, s2, s6, v3
	s_delay_alu instid0(VALU_DEP_1) | instskip(SKIP_1) | instid1(VALU_DEP_1)
	v_add_co_ci_u32_e64 v3, null, s7, 0, s2
	v_add_co_u32 v8, s2, s6, v8
	v_add_co_ci_u32_e64 v9, null, s7, 0, s2
	v_add_co_u32 v10, s2, s6, v10
	s_delay_alu instid0(VALU_DEP_1)
	v_add_co_ci_u32_e64 v11, null, s7, 0, s2
	s_clause 0x2
	global_load_b64 v[57:58], v[2:3], off offset:160
	global_load_b64 v[53:54], v[8:9], off offset:160
	;; [unrolled: 1-line block ×3, first 2 shown]
	v_lshlrev_b32_e32 v2, 3, v5
	ds_load_2addr_b32 v[10:11], v175 offset1:135
	v_mad_u16 v0, 0x96, v0, v4
	global_load_b64 v[63:64], v2, s[6:7] offset:160
	ds_load_2addr_b32 v[2:3], v212 offset0:70 offset1:205
	v_and_b32_e32 v0, 0xffff, v0
	s_delay_alu instid0(VALU_DEP_1)
	v_lshlrev_b32_e32 v0, 2, v0
	s_waitcnt lgkmcnt(1)
	v_lshrrev_b32_e32 v22, 16, v10
	s_waitcnt lgkmcnt(0)
	v_lshrrev_b32_e32 v14, 16, v2
	s_waitcnt vmcnt(3)
	v_lshrrev_b32_e32 v88, 16, v57
	v_lshrrev_b32_e32 v92, 16, v58
	s_waitcnt vmcnt(0)
	v_lshrrev_b32_e32 v8, 16, v63
	v_lshrrev_b32_e32 v20, 16, v64
	s_delay_alu instid0(VALU_DEP_2) | instskip(SKIP_4) | instid1(VALU_DEP_2)
	v_mul_f16_e32 v15, v2, v8
	v_mov_b32_e32 v27, v8
	ds_load_2addr_b32 v[8:9], v174 offset0:12 offset1:147
	v_fmac_f16_e32 v15, v14, v63
	v_mul_f16_e32 v14, v14, v27
	v_add_f16_e32 v23, v22, v15
	s_delay_alu instid0(VALU_DEP_2) | instskip(NEXT) | instid1(VALU_DEP_1)
	v_fma_f16 v2, v2, v63, -v14
	v_add_f16_e32 v14, v10, v2
	s_waitcnt lgkmcnt(0)
	v_lshrrev_b32_e32 v19, 16, v8
	v_mul_f16_e32 v21, v8, v20
	s_delay_alu instid0(VALU_DEP_1) | instskip(SKIP_2) | instid1(VALU_DEP_3)
	v_fmac_f16_e32 v21, v19, v64
	v_mul_f16_e32 v19, v19, v20
	v_add_lshl_u32 v20, v1, v5, 2
	v_add_f16_e32 v24, v15, v21
	s_delay_alu instid0(VALU_DEP_3) | instskip(SKIP_2) | instid1(VALU_DEP_4)
	v_fma_f16 v8, v8, v64, -v19
	v_sub_f16_e32 v35, v15, v21
	v_add_f16_e32 v15, v23, v21
	v_fmac_f16_e32 v22, -0.5, v24
	s_delay_alu instid0(VALU_DEP_4) | instskip(SKIP_2) | instid1(VALU_DEP_3)
	v_add_f16_e32 v19, v2, v8
	v_sub_f16_e32 v2, v2, v8
	v_add_f16_e32 v14, v14, v8
	v_fma_f16 v5, -0.5, v19, v10
	s_delay_alu instid0(VALU_DEP_3) | instskip(NEXT) | instid1(VALU_DEP_3)
	v_fmamk_f16 v10, v2, 0xbaee, v22
	v_pack_b32_f16 v1, v14, v15
	v_lshrrev_b16 v14, 1, v148
	v_fmac_f16_e32 v22, 0x3aee, v2
	v_fmamk_f16 v8, v35, 0x3aee, v5
	v_fmac_f16_e32 v5, 0xbaee, v35
	v_lshrrev_b32_e32 v2, 16, v11
	v_and_b32_e32 v21, 0xffff, v14
	s_delay_alu instid0(VALU_DEP_4) | instskip(SKIP_2) | instid1(VALU_DEP_2)
	v_pack_b32_f16 v8, v8, v10
	v_lshrrev_b16 v10, 1, v149
	v_pack_b32_f16 v5, v5, v22
	v_and_b32_e32 v19, 0xffff, v10
	s_delay_alu instid0(VALU_DEP_1) | instskip(NEXT) | instid1(VALU_DEP_1)
	v_mul_u32_u24_e32 v10, 0x147b, v19
	v_lshrrev_b32_e32 v10, 17, v10
	s_delay_alu instid0(VALU_DEP_1) | instskip(NEXT) | instid1(VALU_DEP_1)
	v_mul_lo_u16 v14, v10, 50
	v_sub_nc_u16 v23, v149, v14
	v_mul_u32_u24_e32 v14, 0x147b, v21
	s_delay_alu instid0(VALU_DEP_1) | instskip(NEXT) | instid1(VALU_DEP_3)
	v_lshrrev_b32_e32 v24, 17, v14
	v_lshlrev_b16 v14, 3, v23
	s_delay_alu instid0(VALU_DEP_2) | instskip(NEXT) | instid1(VALU_DEP_2)
	v_mul_lo_u16 v15, v24, 50
	v_and_b32_e32 v14, 0xffff, v14
	s_delay_alu instid0(VALU_DEP_2) | instskip(NEXT) | instid1(VALU_DEP_2)
	v_sub_nc_u16 v72, v148, v15
	v_add_co_u32 v27, s2, s6, v14
	s_delay_alu instid0(VALU_DEP_1) | instskip(NEXT) | instid1(VALU_DEP_3)
	v_add_co_ci_u32_e64 v28, null, s7, 0, s2
	v_lshlrev_b16 v14, 3, v72
	global_load_b64 v[59:60], v[27:28], off offset:160
	v_and_b32_e32 v14, 0xffff, v14
	s_delay_alu instid0(VALU_DEP_1) | instskip(SKIP_2) | instid1(VALU_DEP_2)
	v_add_co_u32 v27, s2, s6, v14
	v_lshrrev_b16 v14, 1, v98
	v_add_co_ci_u32_e64 v28, null, s7, 0, s2
	v_and_b32_e32 v76, 0xffff, v14
	v_lshrrev_b16 v14, 1, v141
	s_delay_alu instid0(VALU_DEP_1) | instskip(NEXT) | instid1(VALU_DEP_3)
	v_and_b32_e32 v77, 0xffff, v14
	v_mul_u32_u24_e32 v14, 0x147b, v76
	s_delay_alu instid0(VALU_DEP_1) | instskip(NEXT) | instid1(VALU_DEP_3)
	v_lshrrev_b32_e32 v78, 17, v14
	v_mul_u32_u24_e32 v14, 0x147b, v77
	s_delay_alu instid0(VALU_DEP_1) | instskip(NEXT) | instid1(VALU_DEP_3)
	v_lshrrev_b32_e32 v79, 17, v14
	v_mul_lo_u16 v14, v78, 50
	s_delay_alu instid0(VALU_DEP_1) | instskip(NEXT) | instid1(VALU_DEP_3)
	v_sub_nc_u16 v80, v98, v14
	v_mul_lo_u16 v14, v79, 50
	s_delay_alu instid0(VALU_DEP_1) | instskip(NEXT) | instid1(VALU_DEP_3)
	v_sub_nc_u16 v81, v141, v14
	v_lshlrev_b16 v14, 3, v80
	s_delay_alu instid0(VALU_DEP_2) | instskip(NEXT) | instid1(VALU_DEP_2)
	v_lshlrev_b16 v15, 3, v81
	v_and_b32_e32 v14, 0xffff, v14
	s_delay_alu instid0(VALU_DEP_2) | instskip(NEXT) | instid1(VALU_DEP_2)
	v_and_b32_e32 v15, 0xffff, v15
	v_add_co_u32 v29, s2, s6, v14
	s_delay_alu instid0(VALU_DEP_1) | instskip(NEXT) | instid1(VALU_DEP_3)
	v_add_co_ci_u32_e64 v30, null, s7, 0, s2
	v_add_co_u32 v31, s2, s6, v15
	v_add_co_u32 v15, null, 0x438, v177
	v_add_co_ci_u32_e64 v32, null, s7, 0, s2
	s_delay_alu instid0(VALU_DEP_2) | instskip(NEXT) | instid1(VALU_DEP_1)
	v_lshrrev_b16 v14, 1, v15
	v_and_b32_e32 v82, 0xffff, v14
	v_add_co_u32 v14, null, 0x4bf, v177
	s_delay_alu instid0(VALU_DEP_1) | instskip(NEXT) | instid1(VALU_DEP_1)
	v_lshrrev_b16 v33, 1, v14
	v_and_b32_e32 v83, 0xffff, v33
	s_delay_alu instid0(VALU_DEP_4) | instskip(NEXT) | instid1(VALU_DEP_1)
	v_mul_u32_u24_e32 v33, 0x147b, v82
	v_lshrrev_b32_e32 v84, 17, v33
	s_delay_alu instid0(VALU_DEP_3) | instskip(NEXT) | instid1(VALU_DEP_1)
	v_mul_u32_u24_e32 v33, 0x147b, v83
	v_lshrrev_b32_e32 v85, 17, v33
	s_delay_alu instid0(VALU_DEP_3) | instskip(NEXT) | instid1(VALU_DEP_1)
	v_mul_lo_u16 v33, v84, 50
	v_sub_nc_u16 v86, v15, v33
	s_delay_alu instid0(VALU_DEP_3) | instskip(NEXT) | instid1(VALU_DEP_1)
	v_mul_lo_u16 v33, v85, 50
	v_sub_nc_u16 v87, v14, v33
	s_delay_alu instid0(VALU_DEP_3) | instskip(NEXT) | instid1(VALU_DEP_2)
	v_lshlrev_b16 v33, 3, v86
	v_lshlrev_b16 v34, 3, v87
	s_delay_alu instid0(VALU_DEP_2) | instskip(NEXT) | instid1(VALU_DEP_2)
	v_and_b32_e32 v33, 0xffff, v33
	v_and_b32_e32 v37, 0xffff, v34
	s_delay_alu instid0(VALU_DEP_2) | instskip(NEXT) | instid1(VALU_DEP_1)
	v_add_co_u32 v33, s2, s6, v33
	v_add_co_ci_u32_e64 v34, null, s7, 0, s2
	s_delay_alu instid0(VALU_DEP_3) | instskip(NEXT) | instid1(VALU_DEP_1)
	v_add_co_u32 v37, s2, s6, v37
	v_add_co_ci_u32_e64 v38, null, s7, 0, s2
	s_clause 0x4
	global_load_b64 v[67:68], v[27:28], off offset:160
	global_load_b64 v[65:66], v[29:30], off offset:160
	;; [unrolled: 1-line block ×5, first 2 shown]
	ds_load_2addr_b32 v[27:28], v184 offset0:14 offset1:149
	ds_load_2addr_b32 v[29:30], v180 offset0:84 offset1:219
	ds_load_2addr_b32 v[31:32], v179 offset0:26 offset1:161
	ds_load_2addr_b32 v[33:34], v153 offset0:28 offset1:163
	ds_load_2addr_b32 v[37:38], v178 offset0:98 offset1:233
	ds_load_2addr_b32 v[39:40], v170 offset0:40 offset1:175
	ds_load_2addr_b32 v[41:42], v183 offset0:42 offset1:177
	ds_load_2addr_b32 v[43:44], v189 offset0:112 offset1:247
	ds_load_2addr_b32 v[45:46], v167 offset0:54 offset1:189
	ds_load_2addr_b32 v[47:48], v182 offset0:56 offset1:191
	ds_load_2addr_b32 v[70:71], v171 offset0:62 offset1:197
	ds_load_2addr_b32 v[74:75], v156 offset0:68 offset1:203
	s_waitcnt vmcnt(0) lgkmcnt(0)
	s_barrier
	buffer_gl0_inv
	ds_store_2addr_b32 v20, v1, v8 offset1:50
	v_lshrrev_b32_e32 v1, 16, v3
	ds_store_b32 v20, v5 offset:400
	scratch_store_b32 off, v20, off offset:292 ; 4-byte Folded Spill
	v_mov_b32_e32 v20, v0
	v_mul_f16_e32 v8, v1, v88
	s_delay_alu instid0(VALU_DEP_1) | instskip(SKIP_2) | instid1(VALU_DEP_3)
	v_fma_f16 v8, v3, v57, -v8
	v_mul_f16_e32 v3, v3, v88
	v_lshrrev_b32_e32 v88, 16, v9
	v_add_f16_e32 v35, v11, v8
	s_delay_alu instid0(VALU_DEP_3) | instskip(NEXT) | instid1(VALU_DEP_3)
	v_fmac_f16_e32 v3, v1, v57
	v_mul_f16_e32 v91, v88, v92
	s_delay_alu instid0(VALU_DEP_1) | instskip(SKIP_1) | instid1(VALU_DEP_2)
	v_fma_f16 v91, v9, v58, -v91
	v_mul_f16_e32 v9, v9, v92
	v_add_f16_e32 v1, v8, v91
	s_delay_alu instid0(VALU_DEP_2) | instskip(SKIP_1) | instid1(VALU_DEP_3)
	v_fmac_f16_e32 v9, v88, v58
	v_sub_f16_e32 v8, v8, v91
	v_fmac_f16_e32 v11, -0.5, v1
	s_delay_alu instid0(VALU_DEP_3) | instskip(SKIP_2) | instid1(VALU_DEP_3)
	v_add_f16_e32 v88, v3, v9
	v_add_f16_e32 v1, v2, v3
	v_sub_f16_e32 v3, v3, v9
	v_fmac_f16_e32 v2, -0.5, v88
	s_delay_alu instid0(VALU_DEP_3) | instskip(SKIP_1) | instid1(VALU_DEP_4)
	v_add_f16_e32 v1, v1, v9
	v_add_f16_e32 v9, v35, v91
	v_fmamk_f16 v4, v3, 0x3aee, v11
	v_fmac_f16_e32 v11, 0xbaee, v3
	v_fmamk_f16 v5, v8, 0xbaee, v2
	v_fmac_f16_e32 v2, 0x3aee, v8
	v_pack_b32_f16 v1, v9, v1
	v_lshrrev_b32_e32 v3, 16, v53
	v_lshlrev_b32_e32 v91, 3, v177
	v_pack_b32_f16 v4, v4, v5
	v_lshrrev_b32_e32 v5, 16, v27
	s_delay_alu instid0(VALU_DEP_4)
	v_mov_b32_e32 v22, v3
	ds_store_2addr_b32 v0, v1, v4 offset1:50
	v_pack_b32_f16 v0, v11, v2
	v_lshrrev_b32_e32 v1, 16, v29
	v_mul_f16_e32 v2, v29, v3
	v_lshrrev_b32_e32 v11, 16, v54
	v_lshrrev_b32_e32 v3, 16, v31
	ds_store_b32 v20, v0 offset:400
	v_mad_u16 v0, 0x96, v12, v16
	v_fmac_f16_e32 v2, v1, v53
	v_mul_f16_e32 v4, v31, v11
	v_mul_f16_e32 v1, v1, v22
	v_lshrrev_b32_e32 v12, 16, v50
	v_and_b32_e32 v0, 0xffff, v0
	v_add_f16_e32 v8, v5, v2
	v_fmac_f16_e32 v4, v3, v54
	v_mul_f16_e32 v3, v3, v11
	v_fma_f16 v1, v29, v53, -v1
	v_lshlrev_b32_e32 v0, 2, v0
	s_delay_alu instid0(VALU_DEP_4)
	v_add_f16_e32 v9, v2, v4
	v_sub_f16_e32 v2, v2, v4
	v_add_f16_e32 v4, v8, v4
	v_fma_f16 v3, v31, v54, -v3
	v_add_f16_e32 v8, v27, v1
	v_fmac_f16_e32 v5, -0.5, v9
	v_mov_b32_e32 v16, v0
	scratch_store_b32 off, v20, off offset:296 ; 4-byte Folded Spill
	v_add_f16_e32 v9, v1, v3
	v_add_f16_e32 v8, v8, v3
	v_sub_f16_e32 v1, v1, v3
	s_delay_alu instid0(VALU_DEP_2) | instskip(NEXT) | instid1(VALU_DEP_4)
	v_pack_b32_f16 v3, v8, v4
	v_fma_f16 v4, -0.5, v9, v27
	s_delay_alu instid0(VALU_DEP_3) | instskip(SKIP_2) | instid1(VALU_DEP_4)
	v_fmamk_f16 v9, v1, 0xbaee, v5
	v_fmac_f16_e32 v5, 0x3aee, v1
	v_lshrrev_b32_e32 v1, 16, v28
	v_fmamk_f16 v8, v2, 0x3aee, v4
	v_fmac_f16_e32 v4, 0xbaee, v2
	s_delay_alu instid0(VALU_DEP_2) | instskip(SKIP_1) | instid1(VALU_DEP_3)
	v_pack_b32_f16 v8, v8, v9
	v_lshrrev_b32_e32 v9, 16, v32
	v_pack_b32_f16 v4, v4, v5
	ds_store_2addr_b32 v0, v3, v8 offset1:50
	v_lshrrev_b32_e32 v0, 16, v30
	v_lshrrev_b32_e32 v8, 16, v49
	v_mul_f16_e32 v11, v9, v12
	v_mul_f16_e32 v12, v32, v12
	ds_store_b32 v16, v4 offset:400
	v_mad_u16 v4, 0x96, v13, v17
	v_mul_f16_e32 v3, v0, v8
	v_mul_f16_e32 v8, v30, v8
	v_fma_f16 v11, v32, v50, -v11
	v_fmac_f16_e32 v12, v9, v50
	v_and_b32_e32 v4, 0xffff, v4
	v_fma_f16 v3, v30, v49, -v3
	v_fmac_f16_e32 v8, v0, v49
	s_delay_alu instid0(VALU_DEP_3) | instskip(NEXT) | instid1(VALU_DEP_3)
	v_lshlrev_b32_e32 v4, 2, v4
	v_add_f16_e32 v0, v3, v11
	v_add_f16_e32 v2, v28, v3
	s_delay_alu instid0(VALU_DEP_4) | instskip(SKIP_1) | instid1(VALU_DEP_4)
	v_add_f16_e32 v9, v8, v12
	v_sub_f16_e32 v3, v3, v11
	v_fmac_f16_e32 v28, -0.5, v0
	v_add_f16_e32 v0, v1, v8
	v_sub_f16_e32 v8, v8, v12
	v_fmac_f16_e32 v1, -0.5, v9
	v_add_f16_e32 v2, v2, v11
	v_mov_b32_e32 v11, v4
	v_add_f16_e32 v0, v0, v12
	scratch_store_b32 off, v16, off offset:300 ; 4-byte Folded Spill
	v_fmamk_f16 v5, v3, 0xbaee, v1
	v_fmac_f16_e32 v1, 0x3aee, v3
	v_pack_b32_f16 v0, v2, v0
	v_fmamk_f16 v2, v8, 0x3aee, v28
	v_fmac_f16_e32 v28, 0xbaee, v8
	s_delay_alu instid0(VALU_DEP_2)
	v_pack_b32_f16 v2, v2, v5
	v_lshrrev_b32_e32 v5, 16, v33
	ds_store_2addr_b32 v4, v0, v2 offset1:50
	v_pack_b32_f16 v0, v28, v1
	v_lshrrev_b32_e32 v1, 16, v37
	ds_store_b32 v11, v0 offset:400
	v_mad_u16 v0, 0x96, v10, v23
	s_delay_alu instid0(VALU_DEP_1) | instskip(NEXT) | instid1(VALU_DEP_1)
	v_and_b32_e32 v0, 0xffff, v0
	v_lshlrev_b32_e32 v0, 2, v0
	v_lshrrev_b32_e32 v3, 16, v59
	v_lshrrev_b32_e32 v12, 16, v60
	s_delay_alu instid0(VALU_DEP_2) | instskip(SKIP_2) | instid1(VALU_DEP_4)
	v_mul_f16_e32 v2, v37, v3
	v_mov_b32_e32 v13, v3
	v_lshrrev_b32_e32 v3, 16, v39
	v_mul_f16_e32 v4, v39, v12
	s_delay_alu instid0(VALU_DEP_4) | instskip(NEXT) | instid1(VALU_DEP_4)
	v_fmac_f16_e32 v2, v1, v59
	v_mul_f16_e32 v1, v1, v13
	s_delay_alu instid0(VALU_DEP_3) | instskip(SKIP_1) | instid1(VALU_DEP_4)
	v_fmac_f16_e32 v4, v3, v60
	v_mul_f16_e32 v3, v3, v12
	v_add_f16_e32 v8, v5, v2
	s_delay_alu instid0(VALU_DEP_4)
	v_fma_f16 v1, v37, v59, -v1
	v_mov_b32_e32 v12, v0
	v_add_f16_e32 v9, v2, v4
	v_sub_f16_e32 v2, v2, v4
	v_add_f16_e32 v4, v8, v4
	v_fma_f16 v3, v39, v60, -v3
	v_add_f16_e32 v8, v33, v1
	v_fmac_f16_e32 v5, -0.5, v9
	scratch_store_b32 off, v11, off offset:304 ; 4-byte Folded Spill
	v_mul_u32_u24_e32 v37, 0xda75, v82
	v_add_f16_e32 v9, v1, v3
	v_add_f16_e32 v8, v8, v3
	v_sub_f16_e32 v1, v1, v3
	s_delay_alu instid0(VALU_DEP_2) | instskip(NEXT) | instid1(VALU_DEP_4)
	v_pack_b32_f16 v3, v8, v4
	v_fma_f16 v4, -0.5, v9, v33
	s_delay_alu instid0(VALU_DEP_3) | instskip(SKIP_2) | instid1(VALU_DEP_4)
	v_fmamk_f16 v9, v1, 0xbaee, v5
	v_fmac_f16_e32 v5, 0x3aee, v1
	v_lshrrev_b32_e32 v1, 16, v34
	v_fmamk_f16 v8, v2, 0x3aee, v4
	v_fmac_f16_e32 v4, 0xbaee, v2
	s_delay_alu instid0(VALU_DEP_2) | instskip(SKIP_1) | instid1(VALU_DEP_3)
	v_pack_b32_f16 v8, v8, v9
	v_lshrrev_b32_e32 v9, 16, v40
	v_pack_b32_f16 v4, v4, v5
	ds_store_2addr_b32 v0, v3, v8 offset1:50
	v_lshrrev_b32_e32 v0, 16, v38
	ds_store_b32 v12, v4 offset:400
	v_mad_u16 v4, 0x96, v24, v72
	v_mul_u32_u24_e32 v24, 0xda75, v77
	v_lshrrev_b32_e32 v72, 22, v37
	s_delay_alu instid0(VALU_DEP_3) | instskip(NEXT) | instid1(VALU_DEP_1)
	v_and_b32_e32 v4, 0xffff, v4
	v_lshlrev_b32_e32 v4, 2, v4
	v_lshrrev_b32_e32 v253, 16, v67
	v_lshrrev_b32_e32 v11, 16, v68
	;; [unrolled: 1-line block ×5, first 2 shown]
	v_mul_f16_e64 v3, v0, v253
	v_mul_f16_e32 v10, v9, v11
	v_mul_f16_e64 v8, v38, v253
	v_mul_f16_e32 v11, v40, v11
	v_lshrrev_b32_e32 v223, 16, v62
	v_fma_f16 v3, v38, v67, -v3
	v_fma_f16 v10, v40, v68, -v10
	v_fmac_f16_e32 v8, v0, v67
	v_fmac_f16_e32 v11, v9, v68
	v_lshrrev_b32_e32 v206, 16, v56
	v_add_f16_e32 v2, v34, v3
	v_add_f16_e32 v0, v3, v10
	v_sub_f16_e32 v3, v3, v10
	v_add_f16_e32 v9, v8, v11
	v_lshrrev_b32_e32 v200, 16, v51
	v_add_f16_e32 v2, v2, v10
	v_fmac_f16_e32 v34, -0.5, v0
	v_add_f16_e32 v0, v1, v8
	v_sub_f16_e32 v8, v8, v11
	v_fmac_f16_e32 v1, -0.5, v9
	v_mov_b32_e32 v10, v4
	scratch_store_b32 off, v12, off offset:308 ; 4-byte Folded Spill
	v_add_f16_e32 v0, v0, v11
	v_mul_f16_e64 v11, v46, v223
	v_fmamk_f16 v5, v3, 0xbaee, v1
	v_fmac_f16_e32 v1, 0x3aee, v3
	v_lshrrev_b32_e32 v3, 16, v45
	v_pack_b32_f16 v0, v2, v0
	v_fmamk_f16 v2, v8, 0x3aee, v34
	v_fmac_f16_e32 v34, 0xbaee, v8
	v_lshrrev_b32_e32 v235, 16, v52
	v_mul_lo_u16 v38, 0x96, v72
	s_delay_alu instid0(VALU_DEP_4) | instskip(SKIP_1) | instid1(VALU_DEP_3)
	v_pack_b32_f16 v2, v2, v5
	v_lshrrev_b32_e32 v5, 16, v41
	v_sub_nc_u16 v88, v15, v38
	ds_store_2addr_b32 v4, v0, v2 offset1:50
	v_pack_b32_f16 v0, v34, v1
	v_lshrrev_b32_e32 v1, 16, v43
	v_mul_f16_e64 v2, v43, v230
	v_mul_f16_e64 v4, v45, v244
	ds_store_b32 v10, v0 offset:400
	v_mad_u16 v0, 0x96, v78, v80
	v_fmac_f16_e32 v2, v1, v65
	v_mul_f16_e64 v1, v1, v230
	v_fmac_f16_e32 v4, v3, v66
	v_mul_f16_e64 v3, v3, v244
	v_and_b32_e32 v0, 0xffff, v0
	v_add_f16_e32 v8, v5, v2
	v_fma_f16 v1, v43, v65, -v1
	v_add_f16_e32 v9, v2, v4
	v_sub_f16_e32 v2, v2, v4
	v_fma_f16 v3, v45, v66, -v3
	v_add_f16_e32 v4, v8, v4
	v_add_f16_e32 v8, v41, v1
	v_fmac_f16_e32 v5, -0.5, v9
	v_lshlrev_b32_e32 v0, 2, v0
	v_add_f16_e32 v9, v1, v3
	v_sub_f16_e32 v1, v1, v3
	v_add_f16_e32 v8, v8, v3
	s_delay_alu instid0(VALU_DEP_4)
	v_mov_b32_e32 v12, v0
	scratch_store_b32 off, v10, off offset:312 ; 4-byte Folded Spill
	v_pack_b32_f16 v3, v8, v4
	v_fma_f16 v4, -0.5, v9, v41
	scratch_store_b32 off, v12, off offset:316 ; 4-byte Folded Spill
	v_fmamk_f16 v9, v1, 0xbaee, v5
	v_fmac_f16_e32 v5, 0x3aee, v1
	v_lshrrev_b32_e32 v1, 16, v42
	v_fmamk_f16 v8, v2, 0x3aee, v4
	v_fmac_f16_e32 v4, 0xbaee, v2
	s_delay_alu instid0(VALU_DEP_2) | instskip(SKIP_1) | instid1(VALU_DEP_3)
	v_pack_b32_f16 v8, v8, v9
	v_lshrrev_b32_e32 v9, 16, v46
	v_pack_b32_f16 v4, v4, v5
	ds_store_2addr_b32 v0, v3, v8 offset1:50
	v_lshrrev_b32_e32 v0, 16, v44
	v_mul_f16_e64 v10, v9, v223
	v_mul_f16_e64 v8, v44, v221
	v_fmac_f16_e32 v11, v9, v62
	ds_store_b32 v12, v4 offset:400
	v_mul_f16_e64 v3, v0, v221
	v_fma_f16 v10, v46, v62, -v10
	v_fmac_f16_e32 v8, v0, v61
	v_mad_u16 v4, 0x96, v79, v81
	s_delay_alu instid0(VALU_DEP_4) | instskip(NEXT) | instid1(VALU_DEP_3)
	v_fma_f16 v3, v44, v61, -v3
	v_add_f16_e32 v9, v8, v11
	s_delay_alu instid0(VALU_DEP_3) | instskip(NEXT) | instid1(VALU_DEP_3)
	v_and_b32_e32 v4, 0xffff, v4
	v_add_f16_e32 v0, v3, v10
	v_add_f16_e32 v2, v42, v3
	v_sub_f16_e32 v3, v3, v10
	s_delay_alu instid0(VALU_DEP_4) | instskip(NEXT) | instid1(VALU_DEP_4)
	v_lshlrev_b32_e32 v4, 2, v4
	v_fmac_f16_e32 v42, -0.5, v0
	v_add_f16_e32 v0, v1, v8
	v_sub_f16_e32 v8, v8, v11
	v_fmac_f16_e32 v1, -0.5, v9
	v_add_f16_e32 v2, v2, v10
	v_mov_b32_e32 v10, v4
	v_add_f16_e32 v0, v0, v11
	s_delay_alu instid0(VALU_DEP_4) | instskip(SKIP_2) | instid1(VALU_DEP_4)
	v_fmamk_f16 v5, v3, 0xbaee, v1
	v_fmac_f16_e32 v1, 0x3aee, v3
	v_lshrrev_b32_e32 v3, 16, v55
	v_pack_b32_f16 v0, v2, v0
	v_fmamk_f16 v2, v8, 0x3aee, v42
	v_fmac_f16_e32 v42, 0xbaee, v8
	s_delay_alu instid0(VALU_DEP_4) | instskip(NEXT) | instid1(VALU_DEP_3)
	v_mov_b32_e32 v11, v3
	v_pack_b32_f16 v2, v2, v5
	v_lshrrev_b32_e32 v5, 16, v47
	ds_store_2addr_b32 v4, v0, v2 offset1:50
	v_pack_b32_f16 v0, v42, v1
	v_lshrrev_b32_e32 v1, 16, v70
	v_mul_f16_e32 v2, v70, v3
	v_lshrrev_b32_e32 v3, 16, v74
	v_mul_f16_e64 v4, v74, v206
	ds_store_b32 v10, v0 offset:400
	v_mad_u16 v0, 0x96, v84, v86
	v_fmac_f16_e32 v2, v1, v55
	v_mul_f16_e32 v1, v1, v11
	v_fmac_f16_e32 v4, v3, v56
	v_mul_f16_e64 v3, v3, v206
	v_and_b32_e32 v0, 0xffff, v0
	v_add_f16_e32 v8, v5, v2
	v_fma_f16 v1, v70, v55, -v1
	v_add_f16_e32 v9, v2, v4
	v_sub_f16_e32 v2, v2, v4
	v_fma_f16 v3, v74, v56, -v3
	v_add_f16_e32 v4, v8, v4
	v_add_f16_e32 v8, v47, v1
	v_fmac_f16_e32 v5, -0.5, v9
	v_lshlrev_b32_e32 v0, 2, v0
	v_add_f16_e32 v9, v1, v3
	v_sub_f16_e32 v1, v1, v3
	v_add_f16_e32 v8, v8, v3
	v_mul_f16_e64 v11, v75, v235
	v_mov_b32_e32 v12, v0
	s_delay_alu instid0(VALU_DEP_3) | instskip(SKIP_4) | instid1(VALU_DEP_4)
	v_pack_b32_f16 v3, v8, v4
	v_fma_f16 v4, -0.5, v9, v47
	v_fmamk_f16 v9, v1, 0xbaee, v5
	v_fmac_f16_e32 v5, 0x3aee, v1
	v_lshrrev_b32_e32 v1, 16, v48
	v_fmamk_f16 v8, v2, 0x3aee, v4
	v_fmac_f16_e32 v4, 0xbaee, v2
	s_delay_alu instid0(VALU_DEP_2) | instskip(NEXT) | instid1(VALU_DEP_2)
	v_pack_b32_f16 v8, v8, v9
	v_pack_b32_f16 v4, v4, v5
	v_lshrrev_b32_e32 v9, 16, v75
	ds_store_2addr_b32 v0, v3, v8 offset1:50
	ds_store_b32 v12, v4 offset:400
	v_mad_u16 v4, 0x96, v85, v87
	v_lshrrev_b32_e32 v0, 16, v71
	v_mul_f16_e64 v8, v71, v200
	v_fmac_f16_e32 v11, v9, v52
	s_delay_alu instid0(VALU_DEP_4) | instskip(NEXT) | instid1(VALU_DEP_4)
	v_and_b32_e32 v4, 0xffff, v4
	v_mul_f16_e64 v3, v0, v200
	s_delay_alu instid0(VALU_DEP_4) | instskip(NEXT) | instid1(VALU_DEP_3)
	v_fmac_f16_e32 v8, v0, v51
	v_lshlrev_b32_e32 v4, 2, v4
	scratch_store_b32 off, v10, off offset:320 ; 4-byte Folded Spill
	v_mul_f16_e64 v10, v9, v235
	v_fma_f16 v3, v71, v51, -v3
	v_add_f16_e32 v9, v8, v11
	s_clause 0x1
	scratch_store_b32 off, v4, off offset:324
	scratch_store_b32 off, v12, off offset:328
	v_fma_f16 v10, v75, v52, -v10
	v_add_f16_e32 v2, v48, v3
	s_delay_alu instid0(VALU_DEP_2) | instskip(NEXT) | instid1(VALU_DEP_2)
	v_add_f16_e32 v0, v3, v10
	v_add_f16_e32 v2, v2, v10
	v_sub_f16_e32 v3, v3, v10
	s_delay_alu instid0(VALU_DEP_3) | instskip(SKIP_3) | instid1(VALU_DEP_3)
	v_fmac_f16_e32 v48, -0.5, v0
	v_add_f16_e32 v0, v1, v8
	v_sub_f16_e32 v8, v8, v11
	v_fmac_f16_e32 v1, -0.5, v9
	v_add_f16_e32 v0, v0, v11
	s_delay_alu instid0(VALU_DEP_2) | instskip(SKIP_1) | instid1(VALU_DEP_3)
	v_fmamk_f16 v5, v3, 0xbaee, v1
	v_fmac_f16_e32 v1, 0x3aee, v3
	v_pack_b32_f16 v0, v2, v0
	v_fmamk_f16 v2, v8, 0x3aee, v48
	v_fmac_f16_e32 v48, 0xbaee, v8
	s_delay_alu instid0(VALU_DEP_2) | instskip(SKIP_3) | instid1(VALU_DEP_1)
	v_pack_b32_f16 v2, v2, v5
	ds_store_2addr_b32 v4, v0, v2 offset1:50
	v_pack_b32_f16 v0, v48, v1
	v_add_co_u32 v1, s2, v177, -15
	v_add_co_ci_u32_e64 v2, null, 0, -1, s2
	ds_store_b32 v4, v0 offset:400
	v_mul_u32_u24_e32 v0, 0xda75, v6
	s_waitcnt lgkmcnt(0)
	s_waitcnt_vscnt null, 0x0
	v_dual_cndmask_b32 v3, v2, v36 :: v_dual_cndmask_b32 v2, v1, v18
	v_mul_u32_u24_e32 v1, 0xda75, v7
	v_lshrrev_b32_e32 v0, 22, v0
	s_barrier
	buffer_gl0_inv
	v_lshlrev_b64 v[8:9], 3, v[2:3]
	v_lshrrev_b32_e32 v1, 22, v1
	v_mul_lo_u16 v3, 0x96, v0
	s_delay_alu instid0(VALU_DEP_2) | instskip(NEXT) | instid1(VALU_DEP_2)
	v_mul_lo_u16 v4, 0x96, v1
	v_sub_nc_u16 v3, v73, v3
	v_add_co_u32 v8, vcc_lo, s6, v8
	v_add_co_ci_u32_e32 v9, vcc_lo, s7, v9, vcc_lo
	s_delay_alu instid0(VALU_DEP_4) | instskip(NEXT) | instid1(VALU_DEP_4)
	v_sub_nc_u16 v4, v90, v4
	v_lshlrev_b16 v5, 3, v3
	v_cmp_lt_u16_e32 vcc_lo, 14, v89
	v_mad_u16 v0, 0x1c2, v0, v3
	s_delay_alu instid0(VALU_DEP_4) | instskip(NEXT) | instid1(VALU_DEP_4)
	v_lshlrev_b16 v6, 3, v4
	v_and_b32_e32 v5, 0xffff, v5
	v_mad_u16 v1, 0x1c2, v1, v4
	s_delay_alu instid0(VALU_DEP_4) | instskip(NEXT) | instid1(VALU_DEP_4)
	v_and_b32_e32 v0, 0xffff, v0
	v_and_b32_e32 v6, 0xffff, v6
	s_delay_alu instid0(VALU_DEP_4) | instskip(NEXT) | instid1(VALU_DEP_1)
	v_add_co_u32 v10, s2, s6, v5
	v_add_co_ci_u32_e64 v11, null, s7, 0, s2
	s_delay_alu instid0(VALU_DEP_3) | instskip(NEXT) | instid1(VALU_DEP_1)
	v_add_co_u32 v27, s2, s6, v6
	v_add_co_ci_u32_e64 v28, null, s7, 0, s2
	s_clause 0x3
	global_load_b64 v[198:199], v[8:9], off offset:560
	global_load_b64 v[251:252], v[10:11], off offset:560
	;; [unrolled: 1-line block ×3, first 2 shown]
	global_load_b64 v[192:193], v91, s[6:7] offset:560
	ds_load_2addr_b32 v[8:9], v212 offset0:70 offset1:205
	ds_load_2addr_b32 v[10:11], v174 offset0:12 offset1:147
	ds_load_2addr_b32 v[27:28], v175 offset1:135
	v_lshlrev_b32_e32 v0, 2, v0
	v_and_b32_e32 v1, 0xffff, v1
	s_delay_alu instid0(VALU_DEP_1)
	v_lshlrev_b32_e32 v1, 2, v1
	s_waitcnt lgkmcnt(2)
	v_lshrrev_b32_e32 v5, 16, v8
	s_waitcnt lgkmcnt(0)
	v_lshrrev_b32_e32 v13, 16, v27
	s_waitcnt vmcnt(0)
	v_lshrrev_b32_e32 v7, 16, v192
	v_lshrrev_b32_e32 v20, 16, v193
	s_delay_alu instid0(VALU_DEP_2) | instskip(SKIP_2) | instid1(VALU_DEP_4)
	v_mul_f16_e32 v6, v8, v7
	v_mov_b32_e32 v22, v7
	v_lshrrev_b32_e32 v7, 16, v10
	v_mul_f16_e32 v12, v10, v20
	s_delay_alu instid0(VALU_DEP_4) | instskip(NEXT) | instid1(VALU_DEP_4)
	v_fmac_f16_e64 v6, v5, v192
	v_mul_f16_e32 v5, v5, v22
	s_delay_alu instid0(VALU_DEP_3) | instskip(SKIP_1) | instid1(VALU_DEP_4)
	v_fmac_f16_e64 v12, v7, v193
	v_mul_f16_e32 v7, v7, v20
	v_add_f16_e32 v16, v13, v6
	s_delay_alu instid0(VALU_DEP_4) | instskip(NEXT) | instid1(VALU_DEP_4)
	v_fma_f16 v5, v8, v192, -v5
	v_add_f16_e32 v17, v6, v12
	s_delay_alu instid0(VALU_DEP_4) | instskip(SKIP_1) | instid1(VALU_DEP_4)
	v_fma_f16 v7, v10, v193, -v7
	v_sub_f16_e32 v6, v6, v12
	v_add_f16_e32 v8, v27, v5
	v_add_f16_e32 v12, v16, v12
	v_fmac_f16_e32 v13, -0.5, v17
	v_add_f16_e32 v10, v5, v7
	v_sub_f16_e32 v5, v5, v7
	v_add_f16_e32 v8, v8, v7
	v_mul_u32_u24_e32 v17, 0xda75, v21
	s_delay_alu instid0(VALU_DEP_2) | instskip(SKIP_2) | instid1(VALU_DEP_4)
	v_pack_b32_f16 v7, v8, v12
	v_fma_f16 v8, -0.5, v10, v27
	v_fmamk_f16 v12, v5, 0xbaee, v13
	v_lshrrev_b32_e32 v17, 22, v17
	v_fmac_f16_e32 v13, 0x3aee, v5
	v_lshrrev_b32_e32 v5, 16, v28
	v_fmamk_f16 v10, v6, 0x3aee, v8
	v_fmac_f16_e32 v8, 0xbaee, v6
	v_mul_lo_u16 v21, 0x96, v17
	s_delay_alu instid0(VALU_DEP_3) | instskip(SKIP_1) | instid1(VALU_DEP_3)
	v_pack_b32_f16 v10, v10, v12
	v_mul_u32_u24_e32 v12, 0xda75, v19
	v_sub_nc_u16 v21, v148, v21
	v_pack_b32_f16 v8, v8, v13
	v_lshrrev_b32_e32 v13, 16, v252
	s_delay_alu instid0(VALU_DEP_4) | instskip(NEXT) | instid1(VALU_DEP_4)
	v_lshrrev_b32_e32 v12, 22, v12
	v_lshlrev_b16 v22, 3, v21
	s_delay_alu instid0(VALU_DEP_2) | instskip(NEXT) | instid1(VALU_DEP_2)
	v_mul_lo_u16 v16, 0x96, v12
	v_and_b32_e32 v22, 0xffff, v22
	s_delay_alu instid0(VALU_DEP_2) | instskip(NEXT) | instid1(VALU_DEP_1)
	v_sub_nc_u16 v16, v149, v16
	v_lshlrev_b16 v19, 3, v16
	s_delay_alu instid0(VALU_DEP_1) | instskip(NEXT) | instid1(VALU_DEP_1)
	v_and_b32_e32 v19, 0xffff, v19
	v_add_co_u32 v29, s2, s6, v19
	v_mul_u32_u24_e32 v19, 0xda75, v76
	v_add_co_ci_u32_e64 v30, null, s7, 0, s2
	s_delay_alu instid0(VALU_DEP_2)
	v_lshrrev_b32_e32 v19, 22, v19
	global_load_b64 v[209:210], v[29:30], off offset:560
	v_add_co_u32 v29, s2, s6, v22
	v_lshrrev_b32_e32 v22, 22, v24
	v_mul_lo_u16 v23, 0x96, v19
	v_add_co_ci_u32_e64 v30, null, s7, 0, s2
	s_delay_alu instid0(VALU_DEP_3) | instskip(NEXT) | instid1(VALU_DEP_3)
	v_mul_lo_u16 v27, 0x96, v22
	v_sub_nc_u16 v23, v98, v23
	s_delay_alu instid0(VALU_DEP_2) | instskip(NEXT) | instid1(VALU_DEP_2)
	v_sub_nc_u16 v27, v141, v27
	v_lshlrev_b16 v24, 3, v23
	s_delay_alu instid0(VALU_DEP_2) | instskip(NEXT) | instid1(VALU_DEP_2)
	v_lshlrev_b16 v37, 3, v27
	v_and_b32_e32 v24, 0xffff, v24
	s_delay_alu instid0(VALU_DEP_2) | instskip(NEXT) | instid1(VALU_DEP_2)
	v_and_b32_e32 v37, 0xffff, v37
	v_add_co_u32 v33, s2, s6, v24
	v_mul_u32_u24_e32 v24, 0xda75, v83
	v_add_co_ci_u32_e64 v34, null, s7, 0, s2
	s_delay_alu instid0(VALU_DEP_4) | instskip(NEXT) | instid1(VALU_DEP_3)
	v_add_co_u32 v37, s2, s6, v37
	v_lshrrev_b32_e32 v24, 22, v24
	v_add_co_ci_u32_e64 v38, null, s7, 0, s2
	s_delay_alu instid0(VALU_DEP_2) | instskip(NEXT) | instid1(VALU_DEP_1)
	v_mul_lo_u16 v24, 0x96, v24
	v_sub_nc_u16 v103, v14, v24
	v_lshlrev_b16 v24, 3, v88
	s_delay_alu instid0(VALU_DEP_2) | instskip(NEXT) | instid1(VALU_DEP_2)
	v_lshlrev_b16 v43, 3, v103
	v_and_b32_e32 v24, 0xffff, v24
	s_delay_alu instid0(VALU_DEP_2) | instskip(NEXT) | instid1(VALU_DEP_2)
	v_and_b32_e32 v43, 0xffff, v43
	v_add_co_u32 v70, s2, s6, v24
	s_delay_alu instid0(VALU_DEP_1) | instskip(NEXT) | instid1(VALU_DEP_3)
	v_add_co_ci_u32_e64 v71, null, s7, 0, s2
	v_add_co_u32 v74, s2, s6, v43
	s_delay_alu instid0(VALU_DEP_1)
	v_add_co_ci_u32_e64 v75, null, s7, 0, s2
	s_clause 0x4
	global_load_b64 v[172:173], v[29:30], off offset:560
	global_load_b64 v[194:195], v[33:34], off offset:560
	;; [unrolled: 1-line block ×5, first 2 shown]
	ds_load_2addr_b32 v[70:71], v184 offset0:14 offset1:149
	ds_load_2addr_b32 v[74:75], v180 offset0:84 offset1:219
	;; [unrolled: 1-line block ×12, first 2 shown]
	s_waitcnt vmcnt(0) lgkmcnt(0)
	s_barrier
	buffer_gl0_inv
	ds_store_2addr_b32 v175, v7, v10 offset1:150
	v_cndmask_b32_e64 v7, 0, 0x1c2, vcc_lo
	v_lshrrev_b32_e32 v10, 16, v198
	v_lshrrev_b32_e32 v29, 16, v199
	ds_store_b32 v175, v8 offset:1200
	v_cmp_gt_u16_e32 vcc_lo, 45, v89
	v_add_lshl_u32 v20, v2, v7, 2
	v_lshrrev_b32_e32 v2, 16, v9
	v_mul_f16_e32 v8, v76, v13
	s_delay_alu instid0(VALU_DEP_2) | instskip(NEXT) | instid1(VALU_DEP_1)
	v_mul_f16_e32 v7, v2, v10
	v_fma_f16 v7, v9, v198, -v7
	v_mul_f16_e32 v9, v9, v10
	v_lshrrev_b32_e32 v10, 16, v11
	s_delay_alu instid0(VALU_DEP_3) | instskip(NEXT) | instid1(VALU_DEP_3)
	v_add_f16_e32 v6, v28, v7
	v_fmac_f16_e64 v9, v2, v198
	s_delay_alu instid0(VALU_DEP_3) | instskip(NEXT) | instid1(VALU_DEP_1)
	v_mul_f16_e32 v24, v10, v29
	v_fma_f16 v24, v11, v199, -v24
	v_mul_f16_e32 v11, v11, v29
	s_delay_alu instid0(VALU_DEP_2) | instskip(NEXT) | instid1(VALU_DEP_2)
	v_add_f16_e32 v2, v7, v24
	v_fmac_f16_e64 v11, v10, v199
	v_add_f16_e32 v6, v6, v24
	v_sub_f16_e32 v7, v7, v24
	s_delay_alu instid0(VALU_DEP_4) | instskip(SKIP_3) | instid1(VALU_DEP_3)
	v_fmac_f16_e32 v28, -0.5, v2
	v_add_f16_e32 v2, v5, v9
	v_add_f16_e32 v10, v9, v11
	v_sub_f16_e32 v9, v9, v11
	v_add_f16_e32 v2, v2, v11
	s_delay_alu instid0(VALU_DEP_3) | instskip(NEXT) | instid1(VALU_DEP_2)
	v_fmac_f16_e32 v5, -0.5, v10
	v_pack_b32_f16 v2, v6, v2
	s_delay_alu instid0(VALU_DEP_4) | instskip(NEXT) | instid1(VALU_DEP_3)
	v_fmamk_f16 v6, v9, 0x3aee, v28
	v_fmamk_f16 v10, v7, 0xbaee, v5
	v_fmac_f16_e32 v28, 0xbaee, v9
	v_fmac_f16_e32 v5, 0x3aee, v7
	v_lshrrev_b32_e32 v7, 16, v251
	v_lshrrev_b32_e32 v9, 16, v70
	v_pack_b32_f16 v6, v6, v10
	s_delay_alu instid0(VALU_DEP_3)
	v_mov_b32_e32 v24, v7
	ds_store_2addr_b32 v20, v2, v6 offset1:150
	v_pack_b32_f16 v2, v28, v5
	v_lshrrev_b32_e32 v5, 16, v74
	v_mul_f16_e32 v6, v74, v7
	v_lshrrev_b32_e32 v7, 16, v76
	ds_store_b32 v20, v2 offset:1200
	v_fmac_f16_e64 v6, v5, v251
	v_fmac_f16_e64 v8, v7, v252
	v_mul_f16_e32 v5, v5, v24
	v_mul_f16_e32 v7, v7, v13
	v_mov_b32_e32 v13, v0
	v_add_f16_e32 v10, v9, v6
	v_add_f16_e32 v11, v6, v8
	v_fma_f16 v5, v74, v251, -v5
	v_fma_f16 v7, v76, v252, -v7
	v_sub_f16_e32 v6, v6, v8
	v_add_f16_e32 v8, v10, v8
	v_fmac_f16_e32 v9, -0.5, v11
	v_add_f16_e32 v10, v70, v5
	v_add_f16_e32 v11, v5, v7
	v_sub_f16_e32 v5, v5, v7
	scratch_store_b32 off, v20, off offset:252 ; 4-byte Folded Spill
	v_add_f16_e32 v10, v10, v7
	v_fma_f16 v3, -0.5, v11, v70
	v_lshrrev_b32_e32 v11, 16, v250
	s_delay_alu instid0(VALU_DEP_3) | instskip(NEXT) | instid1(VALU_DEP_3)
	v_pack_b32_f16 v2, v10, v8
	v_fmamk_f16 v7, v6, 0x3aee, v3
	v_fmamk_f16 v8, v5, 0xbaee, v9
	v_fmac_f16_e32 v3, 0xbaee, v6
	v_fmac_f16_e32 v9, 0x3aee, v5
	v_lshrrev_b32_e32 v5, 16, v71
	s_delay_alu instid0(VALU_DEP_4) | instskip(SKIP_1) | instid1(VALU_DEP_4)
	v_pack_b32_f16 v7, v7, v8
	v_lshrrev_b32_e32 v8, 16, v77
	v_pack_b32_f16 v3, v3, v9
	ds_store_2addr_b32 v0, v2, v7 offset1:150
	v_lshrrev_b32_e32 v0, 16, v75
	v_lshrrev_b32_e32 v7, 16, v249
	v_mul_f16_e32 v10, v8, v11
	v_mul_f16_e32 v11, v77, v11
	ds_store_b32 v13, v3 offset:1200
	v_mul_f16_e32 v2, v0, v7
	v_mul_f16_e32 v7, v75, v7
	v_fma_f16 v10, v77, v250, -v10
	v_fmac_f16_e64 v11, v8, v250
	s_delay_alu instid0(VALU_DEP_4) | instskip(NEXT) | instid1(VALU_DEP_4)
	v_fma_f16 v2, v75, v249, -v2
	v_fmac_f16_e64 v7, v0, v249
	s_delay_alu instid0(VALU_DEP_2) | instskip(NEXT) | instid1(VALU_DEP_2)
	v_add_f16_e32 v0, v2, v10
	v_add_f16_e32 v8, v7, v11
	;; [unrolled: 1-line block ×3, first 2 shown]
	v_sub_f16_e32 v2, v2, v10
	s_delay_alu instid0(VALU_DEP_4)
	v_fmac_f16_e32 v71, -0.5, v0
	v_add_f16_e32 v0, v5, v7
	v_sub_f16_e32 v7, v7, v11
	v_fmac_f16_e32 v5, -0.5, v8
	v_add_f16_e32 v6, v6, v10
	v_mov_b32_e32 v8, v1
	scratch_store_b32 off, v13, off offset:256 ; 4-byte Folded Spill
	v_add_f16_e32 v0, v0, v11
	v_fmamk_f16 v3, v7, 0x3aee, v71
	v_fmamk_f16 v4, v2, 0xbaee, v5
	v_fmac_f16_e32 v71, 0xbaee, v7
	v_fmac_f16_e32 v5, 0x3aee, v2
	v_pack_b32_f16 v0, v6, v0
	s_delay_alu instid0(VALU_DEP_4)
	v_pack_b32_f16 v3, v3, v4
	ds_store_2addr_b32 v1, v0, v3 offset1:150
	v_lshrrev_b32_e32 v1, 16, v80
	v_pack_b32_f16 v0, v71, v5
	v_lshrrev_b32_e32 v5, 16, v78
	ds_store_b32 v8, v0 offset:1200
	v_mad_u16 v0, 0x1c2, v12, v16
	s_delay_alu instid0(VALU_DEP_1) | instskip(NEXT) | instid1(VALU_DEP_1)
	v_and_b32_e32 v0, 0xffff, v0
	v_lshlrev_b32_e32 v0, 2, v0
	v_lshrrev_b32_e32 v3, 16, v209
	v_lshrrev_b32_e32 v9, 16, v210
	s_delay_alu instid0(VALU_DEP_2) | instskip(SKIP_2) | instid1(VALU_DEP_4)
	v_mul_f16_e32 v2, v80, v3
	v_mov_b32_e32 v10, v3
	v_lshrrev_b32_e32 v3, 16, v82
	v_mul_f16_e32 v4, v82, v9
	s_delay_alu instid0(VALU_DEP_4) | instskip(NEXT) | instid1(VALU_DEP_4)
	v_fmac_f16_e64 v2, v1, v209
	v_mul_f16_e32 v1, v1, v10
	v_mov_b32_e32 v10, v0
	s_delay_alu instid0(VALU_DEP_4)
	v_fmac_f16_e64 v4, v3, v210
	v_mul_f16_e32 v3, v3, v9
	v_add_f16_e32 v6, v5, v2
	v_fma_f16 v1, v80, v209, -v1
	scratch_store_b32 off, v8, off offset:260 ; 4-byte Folded Spill
	v_add_f16_e32 v7, v2, v4
	v_sub_f16_e32 v2, v2, v4
	v_add_f16_e32 v4, v6, v4
	v_fma_f16 v3, v82, v210, -v3
	v_add_f16_e32 v6, v78, v1
	v_fmac_f16_e32 v5, -0.5, v7
	s_delay_alu instid0(VALU_DEP_3) | instskip(NEXT) | instid1(VALU_DEP_3)
	v_add_f16_e32 v7, v1, v3
	v_add_f16_e32 v6, v6, v3
	v_sub_f16_e32 v1, v1, v3
	s_delay_alu instid0(VALU_DEP_2) | instskip(NEXT) | instid1(VALU_DEP_4)
	v_pack_b32_f16 v3, v6, v4
	v_fma_f16 v4, -0.5, v7, v78
	s_delay_alu instid0(VALU_DEP_3) | instskip(SKIP_2) | instid1(VALU_DEP_4)
	v_fmamk_f16 v7, v1, 0xbaee, v5
	v_fmac_f16_e32 v5, 0x3aee, v1
	v_lshrrev_b32_e32 v1, 16, v79
	v_fmamk_f16 v6, v2, 0x3aee, v4
	v_fmac_f16_e32 v4, 0xbaee, v2
	s_delay_alu instid0(VALU_DEP_2) | instskip(SKIP_1) | instid1(VALU_DEP_3)
	v_pack_b32_f16 v6, v6, v7
	v_lshrrev_b32_e32 v7, 16, v83
	v_pack_b32_f16 v4, v4, v5
	ds_store_2addr_b32 v0, v3, v6 offset1:150
	v_lshrrev_b32_e32 v0, 16, v81
	ds_store_b32 v10, v4 offset:1200
	v_mad_u16 v4, 0x1c2, v17, v21
	v_lshrrev_b32_e32 v6, 16, v172
	v_lshrrev_b32_e32 v9, 16, v173
	s_delay_alu instid0(VALU_DEP_3) | instskip(NEXT) | instid1(VALU_DEP_3)
	v_and_b32_e32 v4, 0xffff, v4
	v_mul_f16_e32 v3, v0, v6
	s_delay_alu instid0(VALU_DEP_3)
	v_mul_f16_e32 v8, v7, v9
	v_mul_f16_e32 v6, v81, v6
	;; [unrolled: 1-line block ×3, first 2 shown]
	v_lshlrev_b32_e32 v4, 2, v4
	v_fma_f16 v3, v81, v172, -v3
	v_fma_f16 v8, v83, v173, -v8
	v_fmac_f16_e64 v6, v0, v172
	v_fmac_f16_e64 v9, v7, v173
	s_delay_alu instid0(VALU_DEP_4) | instskip(NEXT) | instid1(VALU_DEP_4)
	v_add_f16_e32 v2, v79, v3
	v_add_f16_e32 v0, v3, v8
	v_sub_f16_e32 v3, v3, v8
	s_delay_alu instid0(VALU_DEP_4) | instskip(NEXT) | instid1(VALU_DEP_4)
	v_add_f16_e32 v7, v6, v9
	v_add_f16_e32 v2, v2, v8
	s_delay_alu instid0(VALU_DEP_4)
	v_fmac_f16_e32 v79, -0.5, v0
	v_add_f16_e32 v0, v1, v6
	v_sub_f16_e32 v6, v6, v9
	v_fmac_f16_e32 v1, -0.5, v7
	v_mov_b32_e32 v8, v4
	scratch_store_b32 off, v10, off offset:264 ; 4-byte Folded Spill
	v_add_f16_e32 v0, v0, v9
	v_lshrrev_b32_e32 v9, 16, v195
	v_fmamk_f16 v5, v3, 0xbaee, v1
	v_fmac_f16_e32 v1, 0x3aee, v3
	v_lshrrev_b32_e32 v3, 16, v194
	v_pack_b32_f16 v0, v2, v0
	v_fmamk_f16 v2, v6, 0x3aee, v79
	v_fmac_f16_e32 v79, 0xbaee, v6
	s_delay_alu instid0(VALU_DEP_4) | instskip(NEXT) | instid1(VALU_DEP_3)
	v_mov_b32_e32 v10, v3
	v_pack_b32_f16 v2, v2, v5
	v_lshrrev_b32_e32 v5, 16, v84
	ds_store_2addr_b32 v4, v0, v2 offset1:150
	v_pack_b32_f16 v0, v79, v1
	v_lshrrev_b32_e32 v1, 16, v86
	v_mul_f16_e32 v2, v86, v3
	v_lshrrev_b32_e32 v3, 16, v92
	v_mul_f16_e32 v4, v92, v9
	ds_store_b32 v8, v0 offset:1200
	v_mad_u16 v0, 0x1c2, v19, v23
	v_fmac_f16_e64 v2, v1, v194
	v_mul_f16_e32 v1, v1, v10
	v_fmac_f16_e64 v4, v3, v195
	v_mul_f16_e32 v3, v3, v9
	v_and_b32_e32 v0, 0xffff, v0
	v_add_f16_e32 v6, v5, v2
	v_fma_f16 v1, v86, v194, -v1
	v_add_f16_e32 v7, v2, v4
	v_sub_f16_e32 v2, v2, v4
	v_fma_f16 v3, v92, v195, -v3
	v_add_f16_e32 v4, v6, v4
	v_add_f16_e32 v6, v84, v1
	v_fmac_f16_e32 v5, -0.5, v7
	v_lshlrev_b32_e32 v0, 2, v0
	v_add_f16_e32 v7, v1, v3
	v_sub_f16_e32 v1, v1, v3
	v_add_f16_e32 v6, v6, v3
	v_lshrrev_b32_e32 v9, 16, v238
	v_mov_b32_e32 v10, v0
	scratch_store_b32 off, v8, off offset:268 ; 4-byte Folded Spill
	v_pack_b32_f16 v3, v6, v4
	v_fma_f16 v4, -0.5, v7, v84
	v_fmamk_f16 v7, v1, 0xbaee, v5
	v_fmac_f16_e32 v5, 0x3aee, v1
	v_lshrrev_b32_e32 v1, 16, v85
	s_delay_alu instid0(VALU_DEP_4) | instskip(SKIP_1) | instid1(VALU_DEP_2)
	v_fmamk_f16 v6, v2, 0x3aee, v4
	v_fmac_f16_e32 v4, 0xbaee, v2
	v_pack_b32_f16 v6, v6, v7
	v_lshrrev_b32_e32 v7, 16, v93
	s_delay_alu instid0(VALU_DEP_3)
	v_pack_b32_f16 v4, v4, v5
	ds_store_2addr_b32 v0, v3, v6 offset1:150
	v_lshrrev_b32_e32 v0, 16, v87
	v_lshrrev_b32_e32 v6, 16, v237
	v_mul_f16_e32 v8, v7, v9
	v_mul_f16_e32 v9, v93, v9
	ds_store_b32 v10, v4 offset:1200
	v_mad_u16 v4, 0x1c2, v22, v27
	v_mul_f16_e32 v3, v0, v6
	v_mul_f16_e32 v6, v87, v6
	v_fma_f16 v8, v93, v238, -v8
	v_fmac_f16_e64 v9, v7, v238
	v_and_b32_e32 v4, 0xffff, v4
	v_fma_f16 v3, v87, v237, -v3
	v_fmac_f16_e64 v6, v0, v237
	s_delay_alu instid0(VALU_DEP_3) | instskip(NEXT) | instid1(VALU_DEP_3)
	v_lshlrev_b32_e32 v4, 2, v4
	v_add_f16_e32 v0, v3, v8
	v_add_f16_e32 v2, v85, v3
	s_delay_alu instid0(VALU_DEP_4) | instskip(SKIP_1) | instid1(VALU_DEP_4)
	v_add_f16_e32 v7, v6, v9
	v_sub_f16_e32 v3, v3, v8
	v_fmac_f16_e32 v85, -0.5, v0
	v_add_f16_e32 v0, v1, v6
	v_sub_f16_e32 v6, v6, v9
	v_fmac_f16_e32 v1, -0.5, v7
	v_add_f16_e32 v2, v2, v8
	v_mov_b32_e32 v8, v4
	v_add_f16_e32 v0, v0, v9
	scratch_store_b32 off, v10, off offset:272 ; 4-byte Folded Spill
	v_fmamk_f16 v5, v3, 0xbaee, v1
	v_fmac_f16_e32 v1, 0x3aee, v3
	scratch_store_b32 off, v8, off offset:276 ; 4-byte Folded Spill
	v_pack_b32_f16 v0, v2, v0
	v_fmamk_f16 v2, v6, 0x3aee, v85
	v_fmac_f16_e32 v85, 0xbaee, v6
	v_lshrrev_b32_e32 v3, 16, v254
	v_lshrrev_b32_e32 v9, 16, v255
	s_delay_alu instid0(VALU_DEP_4) | instskip(SKIP_1) | instid1(VALU_DEP_4)
	v_pack_b32_f16 v2, v2, v5
	v_lshrrev_b32_e32 v5, 16, v99
	v_mov_b32_e32 v10, v3
	ds_store_2addr_b32 v4, v0, v2 offset1:150
	v_pack_b32_f16 v0, v85, v1
	v_lshrrev_b32_e32 v1, 16, v101
	v_mul_f16_e32 v2, v101, v3
	v_lshrrev_b32_e32 v3, 16, v105
	v_mul_f16_e32 v4, v105, v9
	ds_store_b32 v8, v0 offset:1200
	v_mad_u16 v0, 0x1c2, v72, v88
	v_fmac_f16_e64 v2, v1, v254
	v_mul_f16_e32 v1, v1, v10
	v_fmac_f16_e64 v4, v3, v255
	v_mul_f16_e32 v3, v3, v9
	v_and_b32_e32 v0, 0xffff, v0
	v_add_f16_e32 v6, v5, v2
	v_fma_f16 v1, v101, v254, -v1
	v_add_f16_e32 v7, v2, v4
	v_sub_f16_e32 v2, v2, v4
	v_fma_f16 v3, v105, v255, -v3
	v_add_f16_e32 v4, v6, v4
	v_add_f16_e32 v6, v99, v1
	v_fmac_f16_e32 v5, -0.5, v7
	v_lshlrev_b32_e32 v0, 2, v0
	v_add_f16_e32 v7, v1, v3
	v_sub_f16_e32 v1, v1, v3
	v_add_f16_e32 v6, v6, v3
	v_lshrrev_b32_e32 v9, 16, v248
	v_mov_b32_e32 v10, v0
	s_delay_alu instid0(VALU_DEP_3)
	v_pack_b32_f16 v3, v6, v4
	v_fma_f16 v4, -0.5, v7, v99
	v_fmamk_f16 v7, v1, 0xbaee, v5
	v_fmac_f16_e32 v5, 0x3aee, v1
	v_lshrrev_b32_e32 v1, 16, v100
	scratch_store_b32 off, v10, off offset:288 ; 4-byte Folded Spill
	v_fmamk_f16 v6, v2, 0x3aee, v4
	v_fmac_f16_e32 v4, 0xbaee, v2
	s_delay_alu instid0(VALU_DEP_2) | instskip(SKIP_1) | instid1(VALU_DEP_3)
	v_pack_b32_f16 v6, v6, v7
	v_lshrrev_b32_e32 v7, 16, v106
	v_pack_b32_f16 v4, v4, v5
	ds_store_2addr_b32 v0, v3, v6 offset1:150
	v_lshrrev_b32_e32 v0, 16, v102
	v_lshrrev_b32_e32 v6, 16, v247
	v_mul_f16_e32 v8, v7, v9
	v_mul_f16_e32 v9, v106, v9
	ds_store_b32 v10, v4 offset:1200
	v_mul_f16_e32 v3, v0, v6
	v_mul_f16_e32 v6, v102, v6
	v_fma_f16 v8, v106, v248, -v8
	v_fmac_f16_e64 v9, v7, v248
	s_delay_alu instid0(VALU_DEP_4) | instskip(NEXT) | instid1(VALU_DEP_4)
	v_fma_f16 v3, v102, v247, -v3
	v_fmac_f16_e64 v6, v0, v247
	s_delay_alu instid0(VALU_DEP_2) | instskip(SKIP_1) | instid1(VALU_DEP_3)
	v_add_f16_e32 v0, v3, v8
	v_add_f16_e32 v2, v100, v3
	;; [unrolled: 1-line block ×3, first 2 shown]
	v_sub_f16_e32 v3, v3, v8
	s_delay_alu instid0(VALU_DEP_4) | instskip(SKIP_4) | instid1(VALU_DEP_4)
	v_fmac_f16_e32 v100, -0.5, v0
	v_add_f16_e32 v0, v1, v6
	v_sub_f16_e32 v6, v6, v9
	v_fmac_f16_e32 v1, -0.5, v7
	v_add_f16_e32 v2, v2, v8
	v_add_f16_e32 v0, v0, v9
	s_delay_alu instid0(VALU_DEP_3) | instskip(SKIP_1) | instid1(VALU_DEP_3)
	v_fmamk_f16 v4, v3, 0xbaee, v1
	v_fmac_f16_e32 v1, 0x3aee, v3
	v_pack_b32_f16 v0, v2, v0
	v_fmamk_f16 v2, v6, 0x3aee, v100
	v_fmac_f16_e32 v100, 0xbaee, v6
	s_delay_alu instid0(VALU_DEP_2) | instskip(SKIP_1) | instid1(VALU_DEP_1)
	v_pack_b32_f16 v2, v2, v4
	v_and_b32_e32 v4, 0xffff, v103
	v_lshlrev_b32_e32 v4, 2, v4
	s_delay_alu instid0(VALU_DEP_1)
	v_add_nc_u32_e32 v5, 0x3800, v4
	s_clause 0x1
	scratch_store_b32 off, v5, off offset:280
	scratch_store_b32 off, v4, off offset:284
	ds_store_2addr_b32 v5, v0, v2 offset0:16 offset1:166
	v_pack_b32_f16 v0, v100, v1
	v_add_co_u32 v1, s2, 0xffffffd3, v177
	s_delay_alu instid0(VALU_DEP_1)
	v_add_co_ci_u32_e64 v2, null, 0, -1, s2
	ds_store_b32 v4, v0 offset:15600
	s_waitcnt lgkmcnt(0)
	s_waitcnt_vscnt null, 0x0
	s_barrier
	v_cndmask_b32_e32 v88, v2, v69, vcc_lo
	buffer_gl0_inv
	s_clause 0x2
	global_load_b64 v[245:246], v91, s[6:7] offset:1760
	global_load_b64 v[71:72], v91, s[6:7] offset:2480
	;; [unrolled: 1-line block ×3, first 2 shown]
	v_cndmask_b32_e32 v87, v1, v90, vcc_lo
	s_delay_alu instid0(VALU_DEP_1) | instskip(NEXT) | instid1(VALU_DEP_1)
	v_lshlrev_b64 v[2:3], 3, v[87:88]
	v_add_co_u32 v83, vcc_lo, s6, v2
	s_delay_alu instid0(VALU_DEP_2)
	v_add_co_ci_u32_e32 v84, vcc_lo, s7, v3, vcc_lo
	ds_load_2addr_b32 v[2:3], v212 offset0:70 offset1:205
	v_cmp_lt_u16_e32 vcc_lo, 44, v89
	s_waitcnt lgkmcnt(0)
	v_lshrrev_b32_e32 v0, 16, v2
	v_lshrrev_b32_e32 v5, 16, v3
	s_waitcnt vmcnt(2)
	v_lshrrev_b32_e32 v4, 16, v245
	v_lshrrev_b32_e32 v10, 16, v246
	s_waitcnt vmcnt(1)
	v_lshrrev_b32_e32 v205, 16, v72
	s_waitcnt vmcnt(0)
	v_lshrrev_b32_e32 v211, 16, v69
	v_lshrrev_b32_e32 v208, 16, v70
	v_mul_f16_e32 v1, v2, v4
	s_delay_alu instid0(VALU_DEP_1) | instskip(SKIP_2) | instid1(VALU_DEP_2)
	v_fmac_f16_e64 v1, v0, v245
	v_mul_f16_e32 v0, v0, v4
	v_lshlrev_b32_e32 v4, 3, v18
	v_fma_f16 v0, v2, v245, -v0
	global_load_b64 v[81:82], v4, s[6:7] offset:1760
	s_waitcnt vmcnt(0)
	v_lshrrev_b32_e32 v7, 16, v81
	v_lshrrev_b32_e32 v11, 16, v82
	s_delay_alu instid0(VALU_DEP_2) | instskip(SKIP_1) | instid1(VALU_DEP_2)
	v_mul_f16_e32 v2, v5, v7
	v_mul_f16_e32 v7, v3, v7
	v_fma_f16 v6, v3, v81, -v2
	ds_load_2addr_b32 v[2:3], v174 offset0:12 offset1:147
	v_fmac_f16_e32 v7, v5, v81
	s_waitcnt lgkmcnt(0)
	v_lshrrev_b32_e32 v8, 16, v2
	v_mul_f16_e32 v9, v2, v10
	v_mul_f16_e32 v13, v3, v11
	s_delay_alu instid0(VALU_DEP_2) | instskip(SKIP_2) | instid1(VALU_DEP_3)
	v_fmac_f16_e64 v9, v8, v246
	v_mul_f16_e32 v8, v8, v10
	v_lshrrev_b32_e32 v10, 16, v3
	v_add_f16_e32 v16, v1, v9
	s_delay_alu instid0(VALU_DEP_3) | instskip(NEXT) | instid1(VALU_DEP_3)
	v_fma_f16 v8, v2, v246, -v8
	v_mul_f16_e32 v2, v10, v11
	v_fmac_f16_e32 v13, v10, v82
	s_delay_alu instid0(VALU_DEP_3) | instskip(NEXT) | instid1(VALU_DEP_3)
	v_add_f16_e32 v18, v0, v8
	v_fma_f16 v12, v3, v82, -v2
	ds_load_2addr_b32 v[2:3], v175 offset1:135
	s_waitcnt lgkmcnt(0)
	v_lshrrev_b32_e32 v11, 16, v2
	s_delay_alu instid0(VALU_DEP_1)
	v_add_f16_e32 v17, v11, v1
	v_fmac_f16_e32 v11, -0.5, v16
	v_add_f16_e32 v16, v2, v0
	v_fma_f16 v2, -0.5, v18, v2
	v_sub_f16_e32 v1, v1, v9
	v_sub_f16_e32 v0, v0, v8
	s_delay_alu instid0(VALU_DEP_4) | instskip(NEXT) | instid1(VALU_DEP_3)
	v_add_f16_e32 v16, v16, v8
	v_fmamk_f16 v8, v1, 0x3aee, v2
	v_fmac_f16_e32 v2, 0xbaee, v1
	v_add_f16_e32 v1, v17, v9
	v_fmamk_f16 v9, v0, 0xbaee, v11
	v_fmac_f16_e32 v11, 0x3aee, v0
	v_add_f16_e32 v0, v3, v6
	s_delay_alu instid0(VALU_DEP_4) | instskip(SKIP_2) | instid1(VALU_DEP_4)
	v_pack_b32_f16 v1, v16, v1
	v_lshrrev_b32_e32 v16, 16, v3
	v_pack_b32_f16 v5, v8, v9
	v_add_f16_e32 v0, v0, v12
	v_pack_b32_f16 v2, v2, v11
	s_delay_alu instid0(VALU_DEP_4) | instskip(NEXT) | instid1(VALU_DEP_1)
	v_add_f16_e32 v8, v16, v7
	v_add_f16_e32 v8, v8, v13
	s_delay_alu instid0(VALU_DEP_1) | instskip(SKIP_2) | instid1(VALU_DEP_2)
	v_pack_b32_f16 v17, v0, v8
	v_and_b32_e32 v0, 0xffff, v98
	v_and_b32_e32 v8, 0xffff, v141
	v_mul_u32_u24_e32 v0, 0x91a3, v0
	s_delay_alu instid0(VALU_DEP_2) | instskip(NEXT) | instid1(VALU_DEP_2)
	v_mul_u32_u24_e32 v8, 0x91a3, v8
	v_lshrrev_b32_e32 v18, 24, v0
	s_delay_alu instid0(VALU_DEP_2) | instskip(NEXT) | instid1(VALU_DEP_2)
	v_lshrrev_b32_e32 v0, 24, v8
	v_mul_lo_u16 v8, 0x1c2, v18
	s_delay_alu instid0(VALU_DEP_2) | instskip(NEXT) | instid1(VALU_DEP_2)
	v_mul_lo_u16 v0, 0x1c2, v0
	v_sub_nc_u16 v19, v98, v8
	v_and_b32_e32 v8, 0xffff, v15
	s_delay_alu instid0(VALU_DEP_3) | instskip(NEXT) | instid1(VALU_DEP_3)
	v_sub_nc_u16 v21, v141, v0
	v_lshlrev_b16 v9, 3, v19
	s_delay_alu instid0(VALU_DEP_3) | instskip(NEXT) | instid1(VALU_DEP_3)
	v_mul_u32_u24_e32 v8, 0x91a3, v8
	v_lshlrev_b16 v10, 3, v21
	s_delay_alu instid0(VALU_DEP_3) | instskip(NEXT) | instid1(VALU_DEP_3)
	v_and_b32_e32 v9, 0xffff, v9
	v_lshrrev_b32_e32 v0, 24, v8
	v_and_b32_e32 v8, 0xffff, v14
	s_delay_alu instid0(VALU_DEP_4) | instskip(NEXT) | instid1(VALU_DEP_3)
	v_and_b32_e32 v10, 0xffff, v10
	v_mul_lo_u16 v0, 0x1c2, v0
	s_delay_alu instid0(VALU_DEP_3) | instskip(NEXT) | instid1(VALU_DEP_2)
	v_mul_u32_u24_e32 v8, 0x91a3, v8
	v_sub_nc_u16 v22, v15, v0
	s_delay_alu instid0(VALU_DEP_2) | instskip(SKIP_1) | instid1(VALU_DEP_1)
	v_lshrrev_b32_e32 v11, 24, v8
	v_add_co_u32 v8, s2, s6, v9
	v_add_co_ci_u32_e64 v9, null, s7, 0, s2
	s_delay_alu instid0(VALU_DEP_3) | instskip(SKIP_1) | instid1(VALU_DEP_1)
	v_mul_lo_u16 v0, 0x1c2, v11
	v_add_co_u32 v10, s2, s6, v10
	v_add_co_ci_u32_e64 v11, null, s7, 0, s2
	s_delay_alu instid0(VALU_DEP_3) | instskip(SKIP_1) | instid1(VALU_DEP_2)
	v_sub_nc_u16 v23, v14, v0
	v_lshlrev_b16 v0, 3, v22
	v_lshlrev_b16 v74, 3, v23
	s_delay_alu instid0(VALU_DEP_2) | instskip(NEXT) | instid1(VALU_DEP_2)
	v_and_b32_e32 v0, 0xffff, v0
	v_and_b32_e32 v76, 0xffff, v74
	s_delay_alu instid0(VALU_DEP_2) | instskip(NEXT) | instid1(VALU_DEP_1)
	v_add_co_u32 v74, s2, s6, v0
	v_add_co_ci_u32_e64 v75, null, s7, 0, s2
	s_delay_alu instid0(VALU_DEP_3) | instskip(NEXT) | instid1(VALU_DEP_1)
	v_add_co_u32 v85, s2, s6, v76
	v_add_co_ci_u32_e64 v86, null, s7, 0, s2
	v_lshlrev_b32_e32 v0, 3, v73
	s_clause 0x5
	global_load_b64 v[79:80], v[8:9], off offset:1760
	global_load_b64 v[77:78], v[10:11], off offset:1760
	;; [unrolled: 1-line block ×5, first 2 shown]
	global_load_b64 v[85:86], v0, s[6:7] offset:1760
	ds_load_2addr_b32 v[8:9], v184 offset0:14 offset1:149
	ds_load_2addr_b32 v[10:11], v180 offset0:84 offset1:219
	;; [unrolled: 1-line block ×12, first 2 shown]
	s_waitcnt vmcnt(0) lgkmcnt(0)
	s_barrier
	buffer_gl0_inv
	ds_store_b32 v175, v5 offset:1800
	ds_store_b32 v175, v2 offset:3600
	ds_store_2addr_b32 v175, v1, v17 offset1:135
	v_add_f16_e32 v1, v6, v12
	v_sub_f16_e32 v2, v7, v13
	s_delay_alu instid0(VALU_DEP_2)
	v_fmac_f16_e32 v3, -0.5, v1
	v_add_f16_e32 v1, v7, v13
	v_lshrrev_b32_e32 v7, 16, v92
	v_lshrrev_b32_e32 v13, 16, v8
	v_mul_f16_e64 v88, v106, v208
	v_fmamk_f16 v5, v2, 0x3aee, v3
	v_fmac_f16_e32 v16, -0.5, v1
	v_sub_f16_e32 v1, v6, v12
	v_fmac_f16_e32 v3, 0xbaee, v2
	s_delay_alu instid0(VALU_DEP_2) | instskip(SKIP_1) | instid1(VALU_DEP_2)
	v_fmamk_f16 v2, v1, 0xbaee, v16
	v_fmac_f16_e32 v16, 0x3aee, v1
	v_pack_b32_f16 v2, v5, v2
	s_delay_alu instid0(VALU_DEP_2)
	v_pack_b32_f16 v1, v3, v16
	v_lshrrev_b32_e32 v3, 16, v10
	v_lshrrev_b32_e32 v218, 16, v79
	;; [unrolled: 1-line block ×11, first 2 shown]
	v_mul_f16_e64 v6, v10, v229
	v_mul_f16_e64 v12, v92, v232
	v_lshrrev_b32_e32 v228, 16, v76
	v_lshrrev_b32_e32 v185, 16, v74
	s_delay_alu instid0(VALU_DEP_4) | instskip(NEXT) | instid1(VALU_DEP_4)
	v_fmac_f16_e32 v6, v3, v85
	v_fmac_f16_e32 v12, v7, v86
	v_mul_f16_e64 v3, v3, v229
	v_mul_f16_e64 v7, v7, v232
	s_delay_alu instid0(VALU_DEP_4) | instskip(NEXT) | instid1(VALU_DEP_4)
	v_add_f16_e32 v16, v13, v6
	v_add_f16_e32 v17, v6, v12
	s_delay_alu instid0(VALU_DEP_4) | instskip(NEXT) | instid1(VALU_DEP_4)
	v_fma_f16 v3, v10, v85, -v3
	v_fma_f16 v7, v92, v86, -v7
	v_sub_f16_e32 v6, v6, v12
	v_add_f16_e32 v12, v16, v12
	v_fmac_f16_e32 v13, -0.5, v17
	v_add_f16_e32 v10, v8, v3
	v_add_f16_e32 v16, v3, v7
	v_sub_f16_e32 v3, v3, v7
	v_lshrrev_b32_e32 v92, 16, v139
	s_delay_alu instid0(VALU_DEP_4) | instskip(NEXT) | instid1(VALU_DEP_4)
	v_add_f16_e32 v10, v10, v7
	v_fma_f16 v7, -0.5, v16, v8
	v_lshrrev_b32_e32 v16, 16, v106
	s_delay_alu instid0(VALU_DEP_3) | instskip(NEXT) | instid1(VALU_DEP_3)
	v_pack_b32_f16 v5, v10, v12
	v_fmamk_f16 v8, v6, 0x3aee, v7
	v_fmamk_f16 v10, v3, 0xbaee, v13
	v_fmac_f16_e32 v7, 0xbaee, v6
	v_fmac_f16_e32 v13, 0x3aee, v3
	v_mul_f16_e64 v3, v11, v213
	v_mul_f16_e64 v17, v16, v208
	v_pack_b32_f16 v8, v8, v10
	ds_store_b32 v175, v5 offset:1080
	ds_store_2addr_b32 v153, v2, v8 offset0:73 offset1:208
	v_pack_b32_f16 v2, v7, v13
	v_lshrrev_b32_e32 v5, 16, v93
	v_mul_f16_e64 v7, v93, v214
	v_mul_f16_e64 v13, v102, v211
	v_fma_f16 v17, v106, v70, -v17
	ds_store_2addr_b32 v182, v1, v2 offset0:11 offset1:146
	v_cndmask_b32_e64 v1, 0, 0x546, vcc_lo
	v_mul_f16_e64 v6, v5, v214
	v_fmac_f16_e32 v7, v5, v84
	v_lshrrev_b32_e32 v5, 16, v9
	v_fmac_f16_e32 v88, v16, v70
	v_add_lshl_u32 v215, v87, v1, 2
	v_lshrrev_b32_e32 v1, 16, v11
	v_fma_f16 v6, v93, v84, -v6
	v_mul_f16_e64 v87, v105, v205
	v_mul_f16_e64 v93, v92, v185
	s_delay_alu instid0(VALU_DEP_4) | instskip(SKIP_1) | instid1(VALU_DEP_3)
	v_mul_f16_e64 v2, v1, v213
	v_fmac_f16_e32 v3, v1, v83
	v_fma_f16 v93, v139, v74, -v93
	s_delay_alu instid0(VALU_DEP_3) | instskip(SKIP_1) | instid1(VALU_DEP_2)
	v_fma_f16 v2, v11, v83, -v2
	v_lshrrev_b32_e32 v11, 16, v71
	v_add_f16_e32 v1, v2, v6
	v_add_f16_e32 v8, v9, v2
	s_delay_alu instid0(VALU_DEP_2) | instskip(SKIP_1) | instid1(VALU_DEP_1)
	v_fmac_f16_e32 v9, -0.5, v1
	v_sub_f16_e32 v1, v3, v7
	v_fmamk_f16 v10, v1, 0x3aee, v9
	v_fmac_f16_e32 v9, 0xbaee, v1
	v_add_f16_e32 v1, v3, v7
	v_add_f16_e32 v3, v5, v3
	s_delay_alu instid0(VALU_DEP_2) | instskip(SKIP_2) | instid1(VALU_DEP_4)
	v_fmac_f16_e32 v5, -0.5, v1
	v_sub_f16_e32 v1, v2, v6
	v_add_f16_e32 v6, v8, v6
	v_add_f16_e32 v3, v3, v7
	v_lshrrev_b32_e32 v7, 16, v105
	s_delay_alu instid0(VALU_DEP_4) | instskip(SKIP_1) | instid1(VALU_DEP_4)
	v_fmamk_f16 v2, v1, 0xbaee, v5
	v_fmac_f16_e32 v5, 0x3aee, v1
	v_pack_b32_f16 v3, v6, v3
	s_delay_alu instid0(VALU_DEP_4)
	v_mul_f16_e64 v8, v7, v205
	v_fmac_f16_e32 v87, v7, v72
	v_pack_b32_f16 v2, v10, v2
	v_pack_b32_f16 v1, v9, v5
	v_lshrrev_b32_e32 v5, 16, v101
	v_mul_f16_e32 v9, v101, v11
	ds_store_b32 v215, v3
	ds_store_b32 v215, v2 offset:1800
	ds_store_b32 v215, v1 offset:3600
	v_lshrrev_b32_e32 v2, 16, v99
	v_fma_f16 v8, v105, v72, -v8
	v_lshrrev_b32_e32 v6, 16, v100
	v_fmac_f16_e32 v9, v5, v71
	v_mul_f16_e32 v5, v5, v11
	v_lshrrev_b32_e32 v11, 16, v102
	s_delay_alu instid0(VALU_DEP_3) | instskip(NEXT) | instid1(VALU_DEP_3)
	v_add_f16_e32 v3, v2, v9
	v_fma_f16 v5, v101, v71, -v5
	s_delay_alu instid0(VALU_DEP_3) | instskip(SKIP_1) | instid1(VALU_DEP_4)
	v_mul_f16_e64 v12, v11, v211
	v_fmac_f16_e32 v13, v11, v69
	v_add_f16_e32 v3, v3, v87
	s_delay_alu instid0(VALU_DEP_4) | instskip(NEXT) | instid1(VALU_DEP_4)
	v_add_f16_e32 v1, v99, v5
	v_fma_f16 v12, v102, v69, -v12
	s_delay_alu instid0(VALU_DEP_4) | instskip(NEXT) | instid1(VALU_DEP_3)
	v_add_f16_e32 v7, v6, v13
	v_add_f16_e32 v1, v1, v8
	s_delay_alu instid0(VALU_DEP_2) | instskip(NEXT) | instid1(VALU_DEP_2)
	v_add_f16_e32 v7, v7, v88
	v_pack_b32_f16 v1, v1, v3
	v_add_f16_e32 v3, v100, v12
	s_delay_alu instid0(VALU_DEP_1) | instskip(NEXT) | instid1(VALU_DEP_1)
	v_add_f16_e32 v3, v3, v17
	v_pack_b32_f16 v3, v3, v7
	v_add_f16_e32 v7, v12, v17
	ds_store_2addr_b32 v216, v1, v3 offset0:32 offset1:167
	v_add_f16_e32 v1, v9, v87
	v_sub_f16_e32 v3, v9, v87
	v_fmac_f16_e32 v100, -0.5, v7
	v_add_f16_e32 v7, v13, v88
	v_mul_f16_e64 v87, v137, v186
	v_fmac_f16_e32 v2, -0.5, v1
	v_add_f16_e32 v1, v5, v8
	v_sub_f16_e32 v5, v5, v8
	v_sub_f16_e32 v8, v13, v88
	v_fmac_f16_e32 v6, -0.5, v7
	v_sub_f16_e32 v7, v12, v17
	v_fma_f16 v1, -0.5, v1, v99
	v_fmamk_f16 v10, v5, 0xbaee, v2
	v_fmac_f16_e32 v2, 0x3aee, v5
	v_lshrrev_b32_e32 v13, 16, v137
	v_fmamk_f16 v11, v7, 0xbaee, v6
	v_fmamk_f16 v9, v3, 0x3aee, v1
	v_fmac_f16_e32 v1, 0xbaee, v3
	v_lshrrev_b32_e32 v3, 16, v119
	v_fmac_f16_e32 v6, 0x3aee, v7
	v_mul_f16_e64 v7, v119, v231
	v_pack_b32_f16 v9, v9, v10
	v_fmamk_f16 v10, v8, 0x3aee, v100
	v_fmac_f16_e32 v100, 0xbaee, v8
	v_lshrrev_b32_e32 v8, 16, v130
	v_mul_f16_e64 v5, v3, v231
	v_pack_b32_f16 v1, v1, v2
	v_pack_b32_f16 v10, v10, v11
	;; [unrolled: 1-line block ×3, first 2 shown]
	v_add_nc_u32_e32 v2, 0x2400, v175
	v_fma_f16 v5, v119, v77, -v5
	v_fmac_f16_e32 v7, v3, v77
	ds_store_2addr_b32 v178, v9, v10 offset0:98 offset1:233
	v_mul_f16_e64 v9, v8, v236
	v_mul_f16_e64 v10, v130, v236
	ds_store_2addr_b32 v2, v1, v6 offset0:36 offset1:171
	v_lshrrev_b32_e32 v1, 16, v118
	v_mul_f16_e64 v6, v118, v218
	v_fma_f16 v9, v130, v78, -v9
	v_lshrrev_b32_e32 v11, 16, v136
	v_mul_f16_e64 v17, v136, v181
	v_fmac_f16_e32 v10, v8, v78
	v_mul_f16_e64 v2, v1, v218
	v_add_f16_e32 v8, v5, v9
	v_fmac_f16_e32 v6, v1, v79
	v_lshrrev_b32_e32 v1, 16, v129
	v_mul_f16_e64 v3, v129, v220
	v_mul_f16_e64 v12, v11, v181
	;; [unrolled: 1-line block ×3, first 2 shown]
	v_lshrrev_b32_e32 v88, 16, v138
	v_mul_f16_e64 v99, v138, v228
	v_fmac_f16_e32 v17, v11, v75
	v_fmac_f16_e32 v87, v13, v73
	v_lshrrev_b32_e32 v11, 16, v116
	v_add_f16_e32 v13, v116, v5
	v_fmac_f16_e32 v116, -0.5, v8
	v_sub_f16_e32 v8, v7, v10
	v_fmac_f16_e32 v3, v1, v80
	v_mul_f16_e64 v1, v1, v220
	v_mul_f16_e64 v89, v88, v228
	v_fmac_f16_e32 v99, v88, v76
	v_fmamk_f16 v88, v8, 0x3aee, v116
	v_fmac_f16_e32 v116, 0xbaee, v8
	v_add_f16_e32 v8, v7, v10
	v_fma_f16 v2, v118, v79, -v2
	v_fma_f16 v1, v129, v80, -v1
	v_mul_f16_e64 v100, v139, v185
	v_add_f16_e32 v7, v11, v7
	v_fmac_f16_e32 v11, -0.5, v8
	v_sub_f16_e32 v5, v5, v9
	v_add_f16_e32 v101, v115, v2
	v_fmac_f16_e32 v100, v92, v74
	v_lshrrev_b32_e32 v92, 16, v115
	v_add_f16_e32 v102, v6, v3
	v_fmamk_f16 v8, v5, 0xbaee, v11
	v_fmac_f16_e32 v11, 0x3aee, v5
	v_add_f16_e32 v5, v2, v1
	v_fma_f16 v16, v137, v73, -v16
	v_add_f16_e32 v103, v92, v6
	v_fmac_f16_e32 v92, -0.5, v102
	v_add_f16_e32 v101, v101, v1
	v_fma_f16 v5, -0.5, v5, v115
	v_sub_f16_e32 v1, v2, v1
	v_sub_f16_e32 v2, v6, v3
	v_add_f16_e32 v7, v7, v10
	v_lshrrev_b32_e32 v10, 16, v135
	v_fma_f16 v12, v136, v75, -v12
	v_fma_f16 v89, v138, v76, -v89
	v_fmamk_f16 v6, v2, 0x3aee, v5
	v_fmac_f16_e32 v5, 0xbaee, v2
	v_add_f16_e32 v2, v103, v3
	v_fmamk_f16 v3, v1, 0xbaee, v92
	v_fmac_f16_e32 v92, 0x3aee, v1
	v_add_f16_e32 v1, v13, v9
	v_add_f16_e32 v9, v16, v93
	v_add_f16_e64 v13, v135, v16
	v_lshrrev_b32_e32 v103, 16, v134
	v_add_f16_e32 v105, v17, v99
	v_add_f16_e64 v104, v134, v12
	v_fmac_f16_e64 v135, -0.5, v9
	v_sub_f16_e32 v9, v87, v100
	v_add_f16_e32 v106, v103, v17
	v_fmac_f16_e32 v103, -0.5, v105
	v_sub_f16_e32 v17, v17, v99
	v_add_f16_e32 v104, v104, v89
	v_fma_f16 v102, 0x3aee, v9, v135
	v_fmac_f16_e64 v135, 0xbaee, v9
	v_add_f16_e32 v9, v87, v100
	v_add_f16_e32 v87, v10, v87
	v_pack_b32_f16 v3, v6, v3
	v_pack_b32_f16 v2, v101, v2
	;; [unrolled: 1-line block ×3, first 2 shown]
	v_fmac_f16_e32 v10, -0.5, v9
	v_sub_f16_e32 v9, v16, v93
	v_pack_b32_f16 v1, v1, v7
	v_pack_b32_f16 v11, v116, v11
	s_delay_alu instid0(VALU_DEP_3) | instskip(SKIP_3) | instid1(VALU_DEP_3)
	v_fmamk_f16 v16, v9, 0xbaee, v10
	v_fmac_f16_e32 v10, 0x3aee, v9
	v_add_f16_e32 v9, v12, v89
	v_sub_f16_e32 v12, v12, v89
	v_pack_b32_f16 v10, v135, v10
	s_delay_alu instid0(VALU_DEP_3) | instskip(NEXT) | instid1(VALU_DEP_1)
	v_fma_f16 v9, -0.5, v9, v134
	v_fmamk_f16 v89, v17, 0x3aee, v9
	v_fmac_f16_e32 v9, 0xbaee, v17
	v_add_f16_e32 v17, v106, v99
	v_fmamk_f16 v99, v12, 0xbaee, v103
	v_fmac_f16_e32 v103, 0x3aee, v12
	v_add_f16_e32 v12, v13, v93
	v_mad_u16 v13, 0x546, v18, v19
	v_add_f16_e32 v18, v87, v100
	s_delay_alu instid0(VALU_DEP_2) | instskip(NEXT) | instid1(VALU_DEP_1)
	v_and_b32_e32 v6, 0xffff, v13
	v_lshlrev_b32_e32 v243, 2, v6
	ds_store_b32 v243, v2
	ds_store_b32 v243, v3 offset:1800
	ds_store_b32 v243, v5 offset:3600
	v_and_b32_e32 v3, 0xffff, v21
	v_and_b32_e32 v5, 0xffff, v22
	v_pack_b32_f16 v2, v88, v8
	s_delay_alu instid0(VALU_DEP_3)
	v_lshlrev_b32_e32 v234, 2, v3
	ds_store_b32 v234, v1 offset:10800
	ds_store_b32 v234, v2 offset:12600
	;; [unrolled: 1-line block ×3, first 2 shown]
	v_pack_b32_f16 v1, v104, v17
	v_lshlrev_b32_e32 v225, 2, v5
	v_pack_b32_f16 v2, v89, v99
	v_pack_b32_f16 v3, v9, v103
	ds_store_b32 v225, v1 offset:10800
	ds_store_b32 v225, v2 offset:12600
	;; [unrolled: 1-line block ×3, first 2 shown]
	v_and_b32_e32 v3, 0xffff, v23
	v_pack_b32_f16 v1, v12, v18
	v_pack_b32_f16 v2, v102, v16
	s_delay_alu instid0(VALU_DEP_3) | instskip(SKIP_4) | instid1(VALU_DEP_1)
	v_lshlrev_b32_e32 v226, 2, v3
	ds_store_b32 v226, v1 offset:10800
	ds_store_b32 v226, v2 offset:12600
	;; [unrolled: 1-line block ×3, first 2 shown]
	v_add_co_u32 v1, s2, s6, v91
	v_add_co_ci_u32_e64 v3, null, s7, 0, s2
	s_waitcnt lgkmcnt(0)
	s_delay_alu instid0(VALU_DEP_2) | instskip(SKIP_1) | instid1(VALU_DEP_1)
	v_add_co_u32 v2, vcc_lo, 0x1000, v1
	v_add_co_u32 v1, s2, s6, v4
	v_add_co_ci_u32_e64 v4, null, s7, 0, s2
	v_add_co_u32 v0, s2, s6, v0
	v_add_co_ci_u32_e32 v3, vcc_lo, 0, v3, vcc_lo
	s_delay_alu instid0(VALU_DEP_4) | instskip(NEXT) | instid1(VALU_DEP_4)
	v_add_co_u32 v8, vcc_lo, 0x1000, v1
	v_add_co_ci_u32_e32 v9, vcc_lo, 0, v4, vcc_lo
	s_delay_alu instid0(VALU_DEP_4)
	v_add_co_u32 v10, vcc_lo, 0x1000, v0
	v_lshlrev_b32_e32 v0, 3, v90
	v_add_co_ci_u32_e64 v1, null, s7, 0, s2
	s_barrier
	buffer_gl0_inv
	v_add_co_u32 v0, s2, s6, v0
	v_add_co_ci_u32_e32 v11, vcc_lo, 0, v1, vcc_lo
	v_add_co_ci_u32_e64 v1, null, s7, 0, s2
	s_delay_alu instid0(VALU_DEP_3) | instskip(NEXT) | instid1(VALU_DEP_2)
	v_add_co_u32 v87, vcc_lo, 0x1000, v0
	v_add_co_ci_u32_e32 v88, vcc_lo, 0, v1, vcc_lo
	s_clause 0x3
	global_load_b64 v[143:144], v[2:3], off offset:1264
	global_load_b64 v[91:92], v[8:9], off offset:1264
	;; [unrolled: 1-line block ×4, first 2 shown]
	ds_load_2addr_b32 v[2:3], v212 offset0:70 offset1:205
	s_waitcnt lgkmcnt(0)
	v_lshrrev_b32_e32 v0, 16, v2
	v_lshrrev_b32_e32 v4, 16, v3
	s_waitcnt vmcnt(3)
	v_lshrrev_b32_e32 v191, 16, v143
	s_waitcnt vmcnt(2)
	v_lshrrev_b32_e32 v176, 16, v91
	v_lshrrev_b32_e32 v217, 16, v144
	;; [unrolled: 1-line block ×3, first 2 shown]
	s_waitcnt vmcnt(1)
	v_lshrrev_b32_e32 v165, 16, v89
	v_mul_f16_e64 v1, v2, v191
	v_mul_f16_e64 v17, v3, v176
	v_lshrrev_b32_e32 v166, 16, v90
	s_waitcnt vmcnt(0)
	v_lshrrev_b32_e32 v160, 16, v87
	v_lshrrev_b32_e32 v164, 16, v88
	v_fmac_f16_e64 v1, v0, v143
	v_mul_f16_e64 v0, v0, v191
	v_fmac_f16_e32 v17, v4, v91
	s_delay_alu instid0(VALU_DEP_2) | instskip(SKIP_1) | instid1(VALU_DEP_1)
	v_fma_f16 v0, v2, v143, -v0
	v_mul_f16_e64 v2, v4, v176
	v_fma_f16 v16, v3, v91, -v2
	ds_load_2addr_b32 v[2:3], v174 offset0:12 offset1:147
	s_waitcnt lgkmcnt(0)
	v_lshrrev_b32_e32 v5, 16, v2
	v_mul_f16_e64 v6, v2, v217
	v_lshrrev_b32_e32 v7, 16, v3
	v_mul_f16_e64 v19, v3, v207
	s_delay_alu instid0(VALU_DEP_3) | instskip(SKIP_1) | instid1(VALU_DEP_3)
	v_fmac_f16_e64 v6, v5, v144
	v_mul_f16_e64 v5, v5, v217
	v_fmac_f16_e32 v19, v7, v92
	s_delay_alu instid0(VALU_DEP_3) | instskip(NEXT) | instid1(VALU_DEP_3)
	v_add_f16_e32 v9, v1, v6
	v_fma_f16 v5, v2, v144, -v5
	v_mul_f16_e64 v2, v7, v207
	s_delay_alu instid0(VALU_DEP_2) | instskip(NEXT) | instid1(VALU_DEP_2)
	v_add_f16_e32 v11, v0, v5
	v_fma_f16 v18, v3, v92, -v2
	ds_load_2addr_b32 v[2:3], v175 offset1:135
	s_waitcnt lgkmcnt(0)
	v_lshrrev_b32_e32 v8, 16, v2
	v_lshrrev_b32_e32 v23, 16, v3
	s_delay_alu instid0(VALU_DEP_2)
	v_add_f16_e32 v10, v8, v1
	v_fmac_f16_e32 v8, -0.5, v9
	v_add_f16_e32 v9, v2, v0
	v_fma_f16 v2, -0.5, v11, v2
	v_sub_f16_e32 v1, v1, v6
	v_sub_f16_e32 v0, v0, v5
	s_delay_alu instid0(VALU_DEP_4) | instskip(NEXT) | instid1(VALU_DEP_3)
	v_add_f16_e32 v9, v9, v5
	v_fmamk_f16 v5, v1, 0x3aee, v2
	v_fmac_f16_e32 v2, 0xbaee, v1
	v_add_f16_e32 v1, v10, v6
	v_fmamk_f16 v6, v0, 0xbaee, v8
	v_fmac_f16_e32 v8, 0x3aee, v0
	v_add_f16_e32 v0, v3, v16
	s_delay_alu instid0(VALU_DEP_4) | instskip(SKIP_2) | instid1(VALU_DEP_4)
	v_pack_b32_f16 v21, v9, v1
	v_add_f16_e32 v1, v23, v17
	v_pack_b32_f16 v22, v5, v6
	v_add_f16_e32 v0, v0, v18
	v_pack_b32_f16 v2, v2, v8
	s_delay_alu instid0(VALU_DEP_4) | instskip(NEXT) | instid1(VALU_DEP_1)
	v_add_f16_e32 v1, v1, v19
	v_pack_b32_f16 v93, v0, v1
	ds_load_2addr_b32 v[8:9], v184 offset0:14 offset1:149
	ds_load_2addr_b32 v[10:11], v180 offset0:84 offset1:219
	;; [unrolled: 1-line block ×12, first 2 shown]
	ds_store_b32 v175, v22 offset:5400
	ds_store_b32 v175, v2 offset:10800
	ds_store_2addr_b32 v175, v21, v93 offset1:135
	v_add_f16_e32 v2, v16, v18
	s_delay_alu instid0(VALU_DEP_1)
	v_fmac_f16_e32 v3, -0.5, v2
	v_add_f16_e32 v2, v17, v19
	v_sub_f16_e32 v17, v17, v19
	s_waitcnt lgkmcnt(12)
	v_lshrrev_b32_e32 v19, 16, v99
	v_mul_f16_e64 v21, v99, v166
	v_lshrrev_b32_e32 v22, 16, v8
	v_fmac_f16_e32 v23, -0.5, v2
	v_sub_f16_e32 v2, v16, v18
	v_fmamk_f16 v16, v17, 0x3aee, v3
	v_fmac_f16_e32 v3, 0xbaee, v17
	v_mul_f16_e64 v18, v10, v165
	v_fmac_f16_e32 v21, v19, v90
	v_fmamk_f16 v17, v2, 0xbaee, v23
	v_fmac_f16_e32 v23, 0x3aee, v2
	s_delay_alu instid0(VALU_DEP_2) | instskip(NEXT) | instid1(VALU_DEP_2)
	v_pack_b32_f16 v16, v16, v17
	v_pack_b32_f16 v2, v3, v23
	v_lshrrev_b32_e32 v3, 16, v10
	v_mul_f16_e64 v17, v19, v166
	s_delay_alu instid0(VALU_DEP_2) | instskip(SKIP_1) | instid1(VALU_DEP_2)
	v_fmac_f16_e32 v18, v3, v89
	v_mul_f16_e64 v3, v3, v165
	v_add_f16_e32 v23, v18, v21
	s_delay_alu instid0(VALU_DEP_2) | instskip(SKIP_4) | instid1(VALU_DEP_4)
	v_fma_f16 v3, v10, v89, -v3
	v_fma_f16 v10, v99, v90, -v17
	v_add_f16_e32 v93, v22, v18
	v_sub_f16_e32 v18, v18, v21
	v_fmac_f16_e32 v22, -0.5, v23
	v_add_f16_e32 v17, v3, v10
	v_sub_f16_e32 v19, v3, v10
	v_add_f16_e32 v3, v8, v3
	s_delay_alu instid0(VALU_DEP_3) | instskip(NEXT) | instid1(VALU_DEP_3)
	v_fma_f16 v17, -0.5, v17, v8
	v_fmamk_f16 v99, v19, 0xbaee, v22
	v_fmac_f16_e32 v22, 0x3aee, v19
	s_delay_alu instid0(VALU_DEP_4) | instskip(SKIP_4) | instid1(VALU_DEP_3)
	v_add_f16_e32 v3, v3, v10
	v_add_f16_e32 v8, v93, v21
	v_fmamk_f16 v23, v18, 0x3aee, v17
	v_fmac_f16_e32 v17, 0xbaee, v18
	v_mul_f16_e64 v19, v100, v164
	v_pack_b32_f16 v23, v23, v99
	ds_store_2addr_b32 v216, v16, v23 offset0:77 offset1:212
	v_pack_b32_f16 v16, v17, v22
	v_add_nc_u32_e32 v17, 0x2c00, v175
	ds_store_2addr_b32 v17, v2, v16 offset0:19 offset1:154
	v_lshrrev_b32_e32 v2, 16, v11
	v_mov_b32_e32 v20, v17
	v_lshrrev_b32_e32 v17, 16, v100
	s_delay_alu instid0(VALU_DEP_3) | instskip(NEXT) | instid1(VALU_DEP_2)
	v_mul_f16_e64 v16, v2, v160
	v_mul_f16_e64 v18, v17, v164
	v_fmac_f16_e32 v19, v17, v88
	s_delay_alu instid0(VALU_DEP_3) | instskip(SKIP_1) | instid1(VALU_DEP_4)
	v_fma_f16 v16, v11, v87, -v16
	v_mul_f16_e64 v11, v11, v160
	v_fma_f16 v18, v100, v88, -v18
	s_delay_alu instid0(VALU_DEP_2) | instskip(SKIP_3) | instid1(VALU_DEP_2)
	v_fmac_f16_e32 v11, v2, v87
	v_pack_b32_f16 v2, v3, v8
	v_lshrrev_b32_e32 v8, 16, v9
	v_add_f16_e32 v3, v9, v16
	v_add_f16_e32 v10, v8, v11
	s_delay_alu instid0(VALU_DEP_2) | instskip(NEXT) | instid1(VALU_DEP_2)
	v_add_f16_e32 v3, v3, v18
	v_add_f16_e32 v10, v10, v19
	s_delay_alu instid0(VALU_DEP_1) | instskip(SKIP_4) | instid1(VALU_DEP_2)
	v_pack_b32_f16 v3, v3, v10
	v_lshlrev_b32_e32 v10, 3, v98
	ds_store_2addr_b32 v184, v2, v3 offset0:14 offset1:149
	v_add_f16_e32 v2, v16, v18
	v_sub_f16_e32 v3, v11, v19
	v_fmac_f16_e32 v9, -0.5, v2
	v_add_f16_e32 v2, v11, v19
	v_lshlrev_b32_e32 v19, 3, v141
	s_delay_alu instid0(VALU_DEP_2) | instskip(SKIP_3) | instid1(VALU_DEP_3)
	v_fmac_f16_e32 v8, -0.5, v2
	v_sub_f16_e32 v2, v16, v18
	v_fmamk_f16 v16, v3, 0x3aee, v9
	v_fmac_f16_e32 v9, 0xbaee, v3
	v_fmamk_f16 v17, v2, 0xbaee, v8
	v_fmac_f16_e32 v8, 0x3aee, v2
	v_lshlrev_b32_e32 v2, 3, v149
	s_delay_alu instid0(VALU_DEP_2) | instskip(SKIP_1) | instid1(VALU_DEP_3)
	v_pack_b32_f16 v18, v9, v8
	v_lshlrev_b32_e32 v8, 3, v148
	v_add_co_u32 v2, s2, s6, v2
	s_delay_alu instid0(VALU_DEP_1) | instskip(NEXT) | instid1(VALU_DEP_3)
	v_add_co_ci_u32_e64 v3, null, s7, 0, s2
	v_add_co_u32 v8, s2, s6, v8
	s_delay_alu instid0(VALU_DEP_3)
	v_add_co_u32 v2, vcc_lo, 0x1000, v2
	v_add_co_ci_u32_e64 v9, null, s7, 0, s2
	v_add_co_u32 v10, s2, s6, v10
	v_add_co_ci_u32_e32 v3, vcc_lo, 0, v3, vcc_lo
	v_add_co_u32 v8, vcc_lo, 0x1000, v8
	v_add_co_ci_u32_e64 v11, null, s7, 0, s2
	v_add_co_u32 v19, s2, s6, v19
	v_add_co_ci_u32_e32 v9, vcc_lo, 0, v9, vcc_lo
	v_add_co_u32 v10, vcc_lo, 0x1000, v10
	v_add_co_ci_u32_e64 v21, null, s7, 0, s2
	v_add_co_ci_u32_e32 v11, vcc_lo, 0, v11, vcc_lo
	v_add_co_u32 v129, vcc_lo, 0x1000, v19
	s_delay_alu instid0(VALU_DEP_3)
	v_add_co_ci_u32_e32 v130, vcc_lo, 0, v21, vcc_lo
	s_clause 0x3
	global_load_b64 v[101:102], v[2:3], off offset:1264
	global_load_b64 v[99:100], v[8:9], off offset:1264
	;; [unrolled: 1-line block ×4, first 2 shown]
	s_waitcnt lgkmcnt(13)
	v_lshrrev_b32_e32 v2, 16, v115
	s_waitcnt lgkmcnt(12)
	v_lshrrev_b32_e32 v8, 16, v118
	v_lshrrev_b32_e32 v10, 16, v105
	s_waitcnt vmcnt(3)
	v_lshrrev_b32_e32 v98, 16, v101
	v_lshrrev_b32_e32 v155, 16, v102
	s_waitcnt vmcnt(2)
	;; [unrolled: 3-line block ×3, first 2 shown]
	v_lshrrev_b32_e32 v134, 16, v150
	v_mul_f16_e32 v3, v115, v98
	v_mul_f16_e64 v9, v118, v155
	v_lshrrev_b32_e32 v135, 16, v151
	s_waitcnt vmcnt(0)
	v_lshrrev_b32_e32 v130, 16, v148
	v_lshrrev_b32_e32 v141, 16, v149
	v_fmac_f16_e32 v3, v2, v101
	v_fmac_f16_e32 v9, v8, v102
	v_mul_f16_e32 v2, v2, v98
	v_mul_f16_e64 v8, v8, v155
	s_delay_alu instid0(VALU_DEP_4) | instskip(NEXT) | instid1(VALU_DEP_4)
	v_add_f16_e32 v19, v10, v3
	v_add_f16_e32 v11, v3, v9
	s_delay_alu instid0(VALU_DEP_4) | instskip(NEXT) | instid1(VALU_DEP_4)
	v_fma_f16 v2, v115, v101, -v2
	v_fma_f16 v8, v118, v102, -v8
	v_sub_f16_e32 v3, v3, v9
	s_delay_alu instid0(VALU_DEP_4) | instskip(SKIP_1) | instid1(VALU_DEP_4)
	v_fmac_f16_e32 v10, -0.5, v11
	v_pack_b32_f16 v11, v16, v17
	v_add_f16_e32 v16, v2, v8
	v_sub_f16_e32 v17, v2, v8
	v_add_f16_e32 v2, v105, v2
	s_delay_alu instid0(VALU_DEP_3) | instskip(NEXT) | instid1(VALU_DEP_3)
	v_fma_f16 v16, -0.5, v16, v105
	v_fmamk_f16 v22, v17, 0xbaee, v10
	v_fmac_f16_e32 v10, 0x3aee, v17
	s_delay_alu instid0(VALU_DEP_4) | instskip(SKIP_3) | instid1(VALU_DEP_3)
	v_add_f16_e32 v2, v2, v8
	v_add_f16_e32 v8, v19, v9
	v_fmamk_f16 v21, v3, 0x3aee, v16
	v_fmac_f16_e32 v16, 0xbaee, v3
	v_pack_b32_f16 v2, v2, v8
	s_delay_alu instid0(VALU_DEP_3) | instskip(NEXT) | instid1(VALU_DEP_3)
	v_pack_b32_f16 v21, v21, v22
	v_pack_b32_f16 v3, v16, v10
	v_add_nc_u32_e32 v10, 0x3000, v175
	v_lshrrev_b32_e32 v16, 16, v119
	v_lshrrev_b32_e32 v8, 16, v106
	ds_store_2addr_b32 v161, v11, v21 offset0:91 offset1:226
	v_mul_f16_e64 v11, v116, v136
	ds_store_2addr_b32 v10, v18, v3 offset0:33 offset1:168
	v_lshrrev_b32_e32 v3, 16, v116
	v_mov_b32_e32 v24, v10
	v_mul_f16_e64 v17, v16, v137
	v_mul_f16_e64 v18, v119, v137
	s_waitcnt lgkmcnt(11)
	v_lshrrev_b32_e32 v21, 16, v5
	v_mul_f16_e64 v10, v3, v136
	v_fmac_f16_e32 v11, v3, v99
	v_fma_f16 v17, v119, v100, -v17
	v_fmac_f16_e32 v18, v16, v100
	v_mul_f16_e64 v16, v4, v135
	v_fma_f16 v10, v116, v99, -v10
	v_add_f16_e32 v9, v8, v11
	v_mul_f16_e64 v22, v21, v141
	s_delay_alu instid0(VALU_DEP_3) | instskip(NEXT) | instid1(VALU_DEP_3)
	v_add_f16_e32 v3, v106, v10
	v_add_f16_e32 v9, v9, v18
	s_delay_alu instid0(VALU_DEP_3) | instskip(SKIP_1) | instid1(VALU_DEP_4)
	v_fma_f16 v22, v5, v149, -v22
	v_mul_f16_e64 v5, v5, v141
	v_add_f16_e32 v3, v3, v17
	s_delay_alu instid0(VALU_DEP_2) | instskip(NEXT) | instid1(VALU_DEP_2)
	v_fmac_f16_e64 v5, v21, v149
	v_pack_b32_f16 v3, v3, v9
	ds_store_2addr_b32 v153, v2, v3 offset0:28 offset1:163
	v_add_f16_e32 v2, v10, v17
	v_sub_f16_e32 v3, v11, v18
	s_delay_alu instid0(VALU_DEP_2) | instskip(SKIP_2) | instid1(VALU_DEP_3)
	v_fmac_f16_e32 v106, -0.5, v2
	v_add_f16_e32 v2, v11, v18
	v_lshrrev_b32_e32 v11, 16, v4
	v_fmamk_f16 v9, v3, 0x3aee, v106
	s_delay_alu instid0(VALU_DEP_3)
	v_fmac_f16_e32 v8, -0.5, v2
	v_sub_f16_e32 v2, v10, v17
	v_fmac_f16_e32 v106, 0xbaee, v3
	v_mul_f16_e64 v10, v103, v134
	v_fmac_f16_e64 v16, v11, v151
	v_lshrrev_b32_e32 v17, 16, v0
	v_fmamk_f16 v3, v2, 0xbaee, v8
	v_fmac_f16_e32 v8, 0x3aee, v2
	s_delay_alu instid0(VALU_DEP_2) | instskip(NEXT) | instid1(VALU_DEP_2)
	v_pack_b32_f16 v3, v9, v3
	v_pack_b32_f16 v2, v106, v8
	v_lshrrev_b32_e32 v8, 16, v103
	ds_store_b32 v175, v2 offset:13500
	v_fmac_f16_e64 v10, v8, v150
	v_mul_f16_e64 v2, v8, v134
	v_mul_f16_e64 v8, v11, v135
	s_delay_alu instid0(VALU_DEP_3) | instskip(NEXT) | instid1(VALU_DEP_3)
	v_add_f16_e32 v18, v10, v16
	v_fma_f16 v2, v103, v150, -v2
	s_delay_alu instid0(VALU_DEP_3) | instskip(SKIP_3) | instid1(VALU_DEP_4)
	v_fma_f16 v4, v4, v151, -v8
	v_add_f16_e32 v19, v17, v10
	v_sub_f16_e32 v9, v10, v16
	v_fmac_f16_e32 v17, -0.5, v18
	v_add_f16_e32 v8, v2, v4
	v_sub_f16_e32 v10, v2, v4
	s_delay_alu instid0(VALU_DEP_2) | instskip(NEXT) | instid1(VALU_DEP_2)
	v_fma_f16 v8, -0.5, v8, v0
	v_fmamk_f16 v18, v10, 0xbaee, v17
	v_add_f16_e32 v0, v0, v2
	v_add_f16_e32 v2, v19, v16
	v_fmac_f16_e32 v17, 0x3aee, v10
	v_fmamk_f16 v11, v9, 0x3aee, v8
	v_fmac_f16_e32 v8, 0xbaee, v9
	v_add_f16_e32 v0, v0, v4
	s_delay_alu instid0(VALU_DEP_3) | instskip(SKIP_1) | instid1(VALU_DEP_3)
	v_pack_b32_f16 v11, v11, v18
	v_add_nc_u32_e32 v18, 0x1e00, v175
	v_pack_b32_f16 v0, v0, v2
	ds_store_2addr_b32 v18, v3, v11 offset0:105 offset1:240
	v_lshrrev_b32_e32 v3, 16, v104
	v_mov_b32_e32 v27, v18
	v_mul_f16_e64 v18, v104, v130
	s_delay_alu instid0(VALU_DEP_3) | instskip(NEXT) | instid1(VALU_DEP_2)
	v_mul_f16_e64 v11, v3, v130
	v_fmac_f16_e64 v18, v3, v148
	v_lshrrev_b32_e32 v3, 16, v1
	s_delay_alu instid0(VALU_DEP_3) | instskip(NEXT) | instid1(VALU_DEP_2)
	v_fma_f16 v11, v104, v148, -v11
	v_add_f16_e32 v4, v3, v18
	s_delay_alu instid0(VALU_DEP_2) | instskip(NEXT) | instid1(VALU_DEP_2)
	v_add_f16_e32 v2, v1, v11
	v_add_f16_e32 v4, v4, v5
	s_delay_alu instid0(VALU_DEP_2) | instskip(NEXT) | instid1(VALU_DEP_1)
	v_add_f16_e32 v2, v2, v22
	v_pack_b32_f16 v2, v2, v4
	ds_store_2addr_b32 v183, v0, v2 offset0:42 offset1:177
	v_add_f16_e32 v0, v11, v22
	v_sub_f16_e32 v2, v18, v5
	s_delay_alu instid0(VALU_DEP_2) | instskip(SKIP_1) | instid1(VALU_DEP_2)
	v_fmac_f16_e32 v1, -0.5, v0
	v_add_f16_e32 v0, v18, v5
	v_fmamk_f16 v4, v2, 0x3aee, v1
	s_delay_alu instid0(VALU_DEP_2) | instskip(SKIP_3) | instid1(VALU_DEP_3)
	v_fmac_f16_e32 v3, -0.5, v0
	v_sub_f16_e32 v0, v11, v22
	v_fmac_f16_e32 v1, 0xbaee, v2
	v_lshlrev_b32_e32 v2, 3, v14
	v_fmamk_f16 v5, v0, 0xbaee, v3
	v_fmac_f16_e32 v3, 0x3aee, v0
	s_delay_alu instid0(VALU_DEP_2) | instskip(NEXT) | instid1(VALU_DEP_2)
	v_pack_b32_f16 v4, v4, v5
	v_pack_b32_f16 v0, v1, v3
	;; [unrolled: 1-line block ×3, first 2 shown]
	s_waitcnt lgkmcnt(14)
	v_lshrrev_b32_e32 v8, 16, v138
	ds_store_2addr_b32 v167, v1, v0 offset0:54 offset1:189
	v_lshlrev_b32_e32 v0, 3, v15
	s_delay_alu instid0(VALU_DEP_1) | instskip(NEXT) | instid1(VALU_DEP_1)
	v_add_co_u32 v0, s2, s6, v0
	v_add_co_ci_u32_e64 v1, null, s7, 0, s2
	v_add_co_u32 v2, s2, s6, v2
	s_delay_alu instid0(VALU_DEP_3) | instskip(SKIP_1) | instid1(VALU_DEP_4)
	v_add_co_u32 v0, vcc_lo, 0x1000, v0
	v_add_co_ci_u32_e64 v3, null, s7, 0, s2
	v_add_co_ci_u32_e32 v1, vcc_lo, 0, v1, vcc_lo
	s_delay_alu instid0(VALU_DEP_4) | instskip(NEXT) | instid1(VALU_DEP_3)
	v_add_co_u32 v2, vcc_lo, 0x1000, v2
	v_add_co_ci_u32_e32 v3, vcc_lo, 0, v3, vcc_lo
	s_clause 0x1
	global_load_b64 v[105:106], v[0:1], off offset:1264
	global_load_b64 v[103:104], v[2:3], off offset:1264
	s_waitcnt lgkmcnt(14)
	v_lshrrev_b32_e32 v0, 16, v6
	s_waitcnt lgkmcnt(13)
	v_lshrrev_b32_e32 v2, 16, v12
	s_waitcnt vmcnt(1)
	v_lshrrev_b32_e32 v119, 16, v105
	v_lshrrev_b32_e32 v129, 16, v106
	s_waitcnt vmcnt(0)
	v_lshrrev_b32_e32 v93, 16, v103
	v_lshrrev_b32_e32 v118, 16, v104
	v_mul_f16_e32 v1, v6, v119
	v_mul_f16_e64 v3, v12, v129
	s_delay_alu instid0(VALU_DEP_2) | instskip(NEXT) | instid1(VALU_DEP_2)
	v_fmac_f16_e32 v1, v0, v105
	v_fmac_f16_e32 v3, v2, v106
	v_mul_f16_e32 v0, v0, v119
	v_mul_f16_e64 v2, v2, v129
	s_delay_alu instid0(VALU_DEP_4) | instskip(NEXT) | instid1(VALU_DEP_4)
	v_add_f16_e32 v10, v8, v1
	v_add_f16_e32 v9, v1, v3
	s_delay_alu instid0(VALU_DEP_4) | instskip(NEXT) | instid1(VALU_DEP_4)
	v_fma_f16 v0, v6, v105, -v0
	v_fma_f16 v2, v12, v106, -v2
	v_sub_f16_e32 v1, v1, v3
	s_delay_alu instid0(VALU_DEP_4) | instskip(NEXT) | instid1(VALU_DEP_3)
	v_fmac_f16_e32 v8, -0.5, v9
	v_add_f16_e32 v5, v0, v2
	v_sub_f16_e32 v6, v0, v2
	v_add_f16_e64 v0, v138, v0
	s_delay_alu instid0(VALU_DEP_3) | instskip(NEXT) | instid1(VALU_DEP_3)
	v_fma_f16 v5, -0.5, v5, v138
	v_fmamk_f16 v11, v6, 0xbaee, v8
	s_delay_alu instid0(VALU_DEP_3)
	v_add_f16_e32 v0, v0, v2
	v_add_f16_e32 v2, v10, v3
	v_lshrrev_b32_e32 v3, 16, v139
	v_fmamk_f16 v9, v1, 0x3aee, v5
	v_fmac_f16_e32 v5, 0xbaee, v1
	v_fmac_f16_e32 v8, 0x3aee, v6
	v_pack_b32_f16 v0, v0, v2
	s_delay_alu instid0(VALU_DEP_4) | instskip(SKIP_1) | instid1(VALU_DEP_4)
	v_pack_b32_f16 v9, v9, v11
	v_add_nc_u32_e32 v11, 0x2200, v175
	v_pack_b32_f16 v1, v5, v8
	ds_store_2addr_b32 v11, v4, v9 offset0:119 offset1:254
	v_lshrrev_b32_e32 v4, 16, v7
	v_mov_b32_e32 v28, v11
	v_lshrrev_b32_e32 v11, 16, v13
	s_delay_alu instid0(VALU_DEP_3) | instskip(NEXT) | instid1(VALU_DEP_2)
	v_mul_f16_e32 v9, v4, v93
	v_mul_f16_e32 v12, v11, v118
	s_delay_alu instid0(VALU_DEP_2) | instskip(SKIP_1) | instid1(VALU_DEP_3)
	v_fma_f16 v9, v7, v103, -v9
	v_mul_f16_e32 v7, v7, v93
	v_fma_f16 v12, v13, v104, -v12
	v_mul_f16_e32 v13, v13, v118
	s_delay_alu instid0(VALU_DEP_4) | instskip(NEXT) | instid1(VALU_DEP_4)
	v_add_f16_e64 v2, v139, v9
	v_fmac_f16_e32 v7, v4, v103
	s_delay_alu instid0(VALU_DEP_3) | instskip(NEXT) | instid1(VALU_DEP_3)
	v_fmac_f16_e32 v13, v11, v104
	v_add_f16_e32 v2, v2, v12
	s_delay_alu instid0(VALU_DEP_3) | instskip(NEXT) | instid1(VALU_DEP_1)
	v_add_f16_e32 v4, v3, v7
	v_add_f16_e32 v4, v4, v13
	s_delay_alu instid0(VALU_DEP_1) | instskip(SKIP_3) | instid1(VALU_DEP_2)
	v_pack_b32_f16 v2, v2, v4
	ds_store_2addr_b32 v182, v0, v2 offset0:56 offset1:191
	v_add_f16_e32 v0, v9, v12
	v_sub_f16_e32 v2, v7, v13
	v_fmac_f16_e64 v139, -0.5, v0
	v_add_f16_e32 v0, v7, v13
	s_delay_alu instid0(VALU_DEP_2) | instskip(NEXT) | instid1(VALU_DEP_2)
	v_fma_f16 v4, 0x3aee, v2, v139
	v_fmac_f16_e32 v3, -0.5, v0
	v_sub_f16_e32 v0, v9, v12
	v_fmac_f16_e64 v139, 0xbaee, v2
	s_delay_alu instid0(VALU_DEP_2) | instskip(SKIP_1) | instid1(VALU_DEP_1)
	v_fmamk_f16 v2, v0, 0xbaee, v3
	v_fmac_f16_e32 v3, 0x3aee, v0
	v_pack_b32_f16 v0, v139, v3
	ds_store_2addr_b32 v156, v1, v0 offset0:68 offset1:203
	v_pack_b32_f16 v0, v4, v2
	ds_store_b32 v175, v0 offset:10260
	s_waitcnt lgkmcnt(0)
	s_barrier
	buffer_gl0_inv
	global_load_b32 v2, v[25:26], off offset:3912
	v_add_co_u32 v0, vcc_lo, 0x3f48, v107
	v_add_co_ci_u32_e32 v1, vcc_lo, 0, v108, vcc_lo
	s_clause 0x6
	global_load_b32 v4, v[0:1], off offset:1620
	global_load_b32 v5, v[0:1], off offset:2160
	;; [unrolled: 1-line block ×7, first 2 shown]
	ds_load_2addr_b32 v[0:1], v175 offset1:135
	s_waitcnt lgkmcnt(0)
	v_lshrrev_b32_e32 v6, 16, v0
	s_waitcnt vmcnt(7)
	v_lshrrev_b32_e32 v3, 16, v2
	s_delay_alu instid0(VALU_DEP_1) | instskip(NEXT) | instid1(VALU_DEP_3)
	v_mul_f16_e32 v7, v0, v3
	v_mul_f16_e32 v3, v6, v3
	s_delay_alu instid0(VALU_DEP_2) | instskip(NEXT) | instid1(VALU_DEP_2)
	v_fmac_f16_e32 v7, v6, v2
	v_fma_f16 v0, v0, v2, -v3
	s_delay_alu instid0(VALU_DEP_1)
	v_pack_b32_f16 v0, v0, v7
	ds_store_b32 v175, v0
	ds_load_2addr_b32 v[2:3], v184 offset0:14 offset1:149
	s_waitcnt vmcnt(6)
	v_lshrrev_b32_e32 v0, 16, v4
	s_waitcnt lgkmcnt(0)
	v_lshrrev_b32_e32 v6, 16, v3
	s_delay_alu instid0(VALU_DEP_2) | instskip(NEXT) | instid1(VALU_DEP_2)
	v_mul_f16_e32 v7, v3, v0
	v_mul_f16_e32 v0, v6, v0
	s_delay_alu instid0(VALU_DEP_2) | instskip(SKIP_2) | instid1(VALU_DEP_3)
	v_fmac_f16_e32 v7, v6, v4
	s_waitcnt vmcnt(5)
	v_lshrrev_b32_e32 v6, 16, v5
	v_fma_f16 v0, v3, v4, -v0
	ds_load_2addr_b32 v[3:4], v153 offset0:28 offset1:163
	v_pack_b32_f16 v0, v0, v7
	s_waitcnt lgkmcnt(0)
	v_lshrrev_b32_e32 v8, 16, v3
	v_mul_f16_e32 v9, v3, v6
	s_delay_alu instid0(VALU_DEP_2) | instskip(NEXT) | instid1(VALU_DEP_2)
	v_mul_f16_e32 v6, v8, v6
	v_fmac_f16_e32 v9, v8, v5
	s_delay_alu instid0(VALU_DEP_2) | instskip(SKIP_1) | instid1(VALU_DEP_2)
	v_fma_f16 v3, v3, v5, -v6
	v_add_nc_u32_e32 v5, 0x600, v175
	v_pack_b32_f16 v3, v3, v9
	ds_store_2addr_b32 v5, v0, v3 offset0:21 offset1:156
	v_add_co_u32 v5, vcc_lo, 0x5000, v107
	v_add_co_ci_u32_e32 v6, vcc_lo, 0, v108, vcc_lo
	s_clause 0x5
	global_load_b32 v0, v[5:6], off offset:580
	global_load_b32 v3, v[5:6], off offset:1120
	;; [unrolled: 1-line block ×6, first 2 shown]
	ds_load_2addr_b32 v[7:8], v182 offset0:56 offset1:191
	s_waitcnt lgkmcnt(0)
	v_lshrrev_b32_e32 v10, 16, v8
	s_waitcnt vmcnt(5)
	v_lshrrev_b32_e32 v9, 16, v0
	s_delay_alu instid0(VALU_DEP_1) | instskip(NEXT) | instid1(VALU_DEP_3)
	v_mul_f16_e32 v11, v8, v9
	v_mul_f16_e32 v9, v10, v9
	s_delay_alu instid0(VALU_DEP_2) | instskip(NEXT) | instid1(VALU_DEP_2)
	v_fmac_f16_e32 v11, v10, v0
	v_fma_f16 v0, v8, v0, -v9
	ds_load_2addr_b32 v[8:9], v212 offset0:70 offset1:205
	s_waitcnt vmcnt(4)
	v_lshrrev_b32_e32 v10, 16, v3
	v_pack_b32_f16 v0, v0, v11
	s_waitcnt lgkmcnt(0)
	v_lshrrev_b32_e32 v12, 16, v8
	s_delay_alu instid0(VALU_DEP_3) | instskip(NEXT) | instid1(VALU_DEP_2)
	v_mul_f16_e32 v13, v8, v10
	v_mul_f16_e32 v10, v12, v10
	s_delay_alu instid0(VALU_DEP_2) | instskip(NEXT) | instid1(VALU_DEP_2)
	v_fmac_f16_e32 v13, v12, v3
	v_fma_f16 v3, v8, v3, -v10
	v_add_co_u32 v10, vcc_lo, 0x7000, v107
	v_add_nc_u32_e32 v8, 0x1200, v175
	v_add_co_ci_u32_e32 v11, vcc_lo, 0, v108, vcc_lo
	s_delay_alu instid0(VALU_DEP_4)
	v_pack_b32_f16 v3, v3, v13
	ds_store_2addr_b32 v8, v0, v3 offset0:63 offset1:198
	s_clause 0x3
	global_load_b32 v0, v[10:11], off offset:2108
	global_load_b32 v3, v[10:11], off offset:2648
	;; [unrolled: 1-line block ×4, first 2 shown]
	ds_load_2addr_b32 v[12:13], v167 offset0:54 offset1:189
	s_waitcnt lgkmcnt(0)
	v_lshrrev_b32_e32 v115, 16, v13
	s_waitcnt vmcnt(3)
	v_lshrrev_b32_e32 v14, 16, v0
	s_delay_alu instid0(VALU_DEP_1) | instskip(NEXT) | instid1(VALU_DEP_3)
	v_mul_f16_e32 v116, v13, v14
	v_mul_f16_e32 v14, v115, v14
	s_delay_alu instid0(VALU_DEP_2) | instskip(NEXT) | instid1(VALU_DEP_2)
	v_fmac_f16_e32 v116, v115, v0
	v_fma_f16 v0, v13, v0, -v14
	ds_load_2addr_b32 v[13:14], v156 offset0:68 offset1:203
	s_waitcnt vmcnt(2)
	v_lshrrev_b32_e32 v115, 16, v3
	v_pack_b32_f16 v0, v0, v116
	s_waitcnt lgkmcnt(0)
	v_lshrrev_b32_e32 v138, 16, v13
	s_delay_alu instid0(VALU_DEP_3) | instskip(NEXT) | instid1(VALU_DEP_2)
	v_mul_f16_e64 v139, v13, v115
	v_mul_f16_e64 v115, v138, v115
	s_delay_alu instid0(VALU_DEP_2) | instskip(NEXT) | instid1(VALU_DEP_2)
	v_fmac_f16_e64 v139, v138, v3
	v_fma_f16 v3, v13, v3, -v115
	v_add_nc_u32_e32 v13, 0x3800, v175
	s_delay_alu instid0(VALU_DEP_2) | instskip(SKIP_3) | instid1(VALU_DEP_1)
	v_pack_b32_f16 v3, v3, v139
	ds_store_2addr_b32 v13, v0, v3 offset0:61 offset1:196
	v_lshrrev_b32_e32 v0, 16, v1
	v_lshrrev_b32_e32 v3, 16, v15
	v_mul_f16_e32 v13, v0, v3
	v_mul_f16_e32 v3, v1, v3
	s_delay_alu instid0(VALU_DEP_2) | instskip(NEXT) | instid1(VALU_DEP_2)
	v_fma_f16 v1, v1, v15, -v13
	v_fmac_f16_e32 v3, v0, v15
	v_lshrrev_b32_e32 v0, 16, v2
	v_lshrrev_b32_e32 v13, 16, v19
	s_delay_alu instid0(VALU_DEP_1) | instskip(SKIP_1) | instid1(VALU_DEP_2)
	v_mul_f16_e32 v15, v0, v13
	v_mul_f16_e32 v13, v2, v13
	v_fma_f16 v2, v2, v19, -v15
	s_delay_alu instid0(VALU_DEP_2) | instskip(SKIP_1) | instid1(VALU_DEP_2)
	v_fmac_f16_e32 v13, v0, v19
	v_pack_b32_f16 v0, v1, v3
	v_pack_b32_f16 v1, v2, v13
	v_add_nc_u32_e32 v2, 0x200, v175
	ds_store_2addr_b32 v2, v0, v1 offset0:7 offset1:142
	v_lshrrev_b32_e32 v1, 16, v16
	v_lshrrev_b32_e32 v0, 16, v4
	s_delay_alu instid0(VALU_DEP_2) | instskip(NEXT) | instid1(VALU_DEP_2)
	v_mul_f16_e32 v3, v4, v1
	v_mul_f16_e32 v2, v0, v1
	s_delay_alu instid0(VALU_DEP_2) | instskip(SKIP_3) | instid1(VALU_DEP_2)
	v_fmac_f16_e32 v3, v0, v16
	ds_load_2addr_b32 v[0:1], v183 offset0:42 offset1:177
	v_fma_f16 v2, v4, v16, -v2
	v_lshrrev_b32_e32 v4, 16, v17
	v_pack_b32_f16 v2, v2, v3
	v_add_nc_u32_e32 v3, 0xa00, v175
	s_waitcnt lgkmcnt(0)
	v_lshrrev_b32_e32 v13, 16, v0
	v_mul_f16_e32 v15, v0, v4
	s_delay_alu instid0(VALU_DEP_2) | instskip(NEXT) | instid1(VALU_DEP_2)
	v_mul_f16_e32 v4, v13, v4
	v_fmac_f16_e32 v15, v13, v17
	s_delay_alu instid0(VALU_DEP_2) | instskip(NEXT) | instid1(VALU_DEP_1)
	v_fma_f16 v0, v0, v17, -v4
	v_pack_b32_f16 v0, v0, v15
	ds_store_2addr_b32 v3, v2, v0 offset0:35 offset1:170
	v_lshrrev_b32_e32 v0, 16, v1
	v_lshrrev_b32_e32 v2, 16, v18
	s_delay_alu instid0(VALU_DEP_1) | instskip(SKIP_1) | instid1(VALU_DEP_2)
	v_mul_f16_e32 v3, v0, v2
	v_mul_f16_e32 v2, v1, v2
	v_fma_f16 v1, v1, v18, -v3
	s_delay_alu instid0(VALU_DEP_2) | instskip(SKIP_2) | instid1(VALU_DEP_1)
	v_fmac_f16_e32 v2, v0, v18
	v_lshrrev_b32_e32 v0, 16, v7
	v_lshrrev_b32_e32 v3, 16, v25
	v_mul_f16_e32 v4, v0, v3
	v_mul_f16_e32 v3, v7, v3
	s_delay_alu instid0(VALU_DEP_2) | instskip(NEXT) | instid1(VALU_DEP_2)
	v_fma_f16 v4, v7, v25, -v4
	v_fmac_f16_e32 v3, v0, v25
	v_pack_b32_f16 v0, v1, v2
	s_delay_alu instid0(VALU_DEP_2)
	v_pack_b32_f16 v1, v4, v3
	ds_store_2addr_b32 v162, v0, v1 offset0:49 offset1:184
	v_add_co_u32 v0, vcc_lo, 0x6000, v107
	v_add_co_ci_u32_e32 v1, vcc_lo, 0, v108, vcc_lo
	s_clause 0x5
	global_load_b32 v4, v[0:1], off offset:1884
	global_load_b32 v7, v[0:1], off offset:2424
	;; [unrolled: 1-line block ×6, first 2 shown]
	ds_load_2addr_b32 v[2:3], v171 offset0:62 offset1:197
	s_waitcnt lgkmcnt(0)
	v_lshrrev_b32_e32 v19, 16, v3
	s_waitcnt vmcnt(5)
	v_lshrrev_b32_e32 v18, 16, v4
	s_delay_alu instid0(VALU_DEP_1) | instskip(NEXT) | instid1(VALU_DEP_3)
	v_mul_f16_e32 v25, v3, v18
	v_mul_f16_e32 v18, v19, v18
	s_delay_alu instid0(VALU_DEP_2) | instskip(NEXT) | instid1(VALU_DEP_2)
	v_fmac_f16_e32 v25, v19, v4
	v_fma_f16 v18, v3, v4, -v18
	ds_load_2addr_b32 v[3:4], v174 offset0:12 offset1:147
	s_waitcnt vmcnt(4)
	v_lshrrev_b32_e32 v19, 16, v7
	s_waitcnt lgkmcnt(0)
	v_lshrrev_b32_e32 v107, 16, v3
	s_delay_alu instid0(VALU_DEP_2) | instskip(NEXT) | instid1(VALU_DEP_2)
	v_mul_f16_e32 v108, v3, v19
	v_mul_f16_e32 v19, v107, v19
	s_delay_alu instid0(VALU_DEP_2) | instskip(NEXT) | instid1(VALU_DEP_2)
	v_fmac_f16_e32 v108, v107, v7
	v_fma_f16 v3, v3, v7, -v19
	v_pack_b32_f16 v7, v18, v25
	v_lshrrev_b32_e32 v18, 16, v8
	s_delay_alu instid0(VALU_DEP_3)
	v_pack_b32_f16 v3, v3, v108
	ds_store_2addr_b32 v168, v7, v3 offset0:5 offset1:140
	s_clause 0x1
	global_load_b32 v3, v[10:11], off offset:1028
	global_load_b32 v10, v[10:11], off offset:488
	v_lshrrev_b32_e32 v7, 16, v12
	s_delay_alu instid0(VALU_DEP_1) | instskip(SKIP_1) | instid1(VALU_DEP_2)
	v_mul_f16_e32 v19, v7, v18
	v_mul_f16_e32 v18, v12, v18
	v_fma_f16 v12, v12, v8, -v19
	s_delay_alu instid0(VALU_DEP_2)
	v_fmac_f16_e32 v18, v7, v8
	ds_load_2addr_b32 v[7:8], v170 offset0:40 offset1:175
	s_waitcnt lgkmcnt(0)
	v_lshrrev_b32_e32 v19, 16, v8
	s_waitcnt vmcnt(1)
	v_lshrrev_b32_e32 v11, 16, v3
	s_delay_alu instid0(VALU_DEP_1) | instskip(NEXT) | instid1(VALU_DEP_3)
	v_mul_f16_e32 v25, v8, v11
	v_mul_f16_e32 v11, v19, v11
	s_delay_alu instid0(VALU_DEP_2) | instskip(NEXT) | instid1(VALU_DEP_2)
	v_fmac_f16_e32 v25, v19, v3
	v_fma_f16 v3, v8, v3, -v11
	v_pack_b32_f16 v8, v12, v18
	v_lshrrev_b32_e32 v11, 16, v17
	s_delay_alu instid0(VALU_DEP_3)
	v_pack_b32_f16 v3, v3, v25
	ds_store_2addr_b32 v169, v3, v8 offset0:47 offset1:182
	v_lshrrev_b32_e32 v3, 16, v2
	global_load_b32 v8, v[0:1], off offset:804
	v_mul_f16_e32 v12, v3, v11
	v_mul_f16_e32 v11, v2, v11
	s_delay_alu instid0(VALU_DEP_2) | instskip(NEXT) | instid1(VALU_DEP_2)
	v_fma_f16 v12, v2, v17, -v12
	v_fmac_f16_e32 v11, v3, v17
	v_lshrrev_b32_e32 v3, 16, v13
	v_lshrrev_b32_e32 v2, 16, v4
	s_delay_alu instid0(VALU_DEP_2) | instskip(NEXT) | instid1(VALU_DEP_2)
	v_mul_f16_e32 v18, v4, v3
	v_mul_f16_e32 v17, v2, v3
	s_waitcnt vmcnt(1)
	v_lshrrev_b32_e32 v3, 16, v10
	s_delay_alu instid0(VALU_DEP_3) | instskip(SKIP_2) | instid1(VALU_DEP_4)
	v_fmac_f16_e32 v18, v2, v13
	v_lshrrev_b32_e32 v2, 16, v7
	v_fma_f16 v17, v4, v13, -v17
	v_mul_f16_e32 v13, v7, v3
	s_delay_alu instid0(VALU_DEP_3) | instskip(NEXT) | instid1(VALU_DEP_2)
	v_mul_f16_e32 v4, v2, v3
	v_fmac_f16_e32 v13, v2, v10
	ds_load_2addr_b32 v[2:3], v180 offset0:84 offset1:219
	v_fma_f16 v7, v7, v10, -v4
	global_load_b32 v4, v[5:6], off offset:2200
	s_waitcnt lgkmcnt(0)
	v_lshrrev_b32_e32 v19, 16, v2
	s_waitcnt vmcnt(0)
	v_lshrrev_b32_e32 v10, 16, v4
	s_delay_alu instid0(VALU_DEP_1) | instskip(NEXT) | instid1(VALU_DEP_3)
	v_mul_f16_e32 v25, v2, v10
	v_mul_f16_e32 v10, v19, v10
	s_delay_alu instid0(VALU_DEP_2) | instskip(NEXT) | instid1(VALU_DEP_2)
	v_fmac_f16_e32 v25, v19, v4
	v_fma_f16 v10, v2, v4, -v10
	v_lshrrev_b32_e32 v2, 16, v3
	v_lshrrev_b32_e32 v4, 16, v21
	s_delay_alu instid0(VALU_DEP_1) | instskip(SKIP_1) | instid1(VALU_DEP_2)
	v_mul_f16_e32 v19, v2, v4
	v_mul_f16_e32 v107, v3, v4
	v_fma_f16 v19, v3, v21, -v19
	s_delay_alu instid0(VALU_DEP_2)
	v_fmac_f16_e32 v107, v2, v21
	s_clause 0x1
	global_load_b32 v2, v[5:6], off offset:3820
	global_load_b32 v3, v[0:1], off offset:264
	ds_load_2addr_b32 v[0:1], v178 offset0:98 offset1:233
	s_waitcnt lgkmcnt(0)
	v_lshrrev_b32_e32 v5, 16, v1
	s_waitcnt vmcnt(1)
	v_lshrrev_b32_e32 v4, 16, v2
	s_delay_alu instid0(VALU_DEP_1) | instskip(NEXT) | instid1(VALU_DEP_3)
	v_mul_f16_e32 v6, v1, v4
	v_mul_f16_e32 v4, v5, v4
	s_delay_alu instid0(VALU_DEP_2) | instskip(NEXT) | instid1(VALU_DEP_2)
	v_fmac_f16_e32 v6, v5, v2
	v_fma_f16 v4, v1, v2, -v4
	ds_load_2addr_b32 v[1:2], v189 offset0:112 offset1:247
	s_waitcnt vmcnt(0)
	v_lshrrev_b32_e32 v5, 16, v3
	s_waitcnt lgkmcnt(0)
	v_lshrrev_b32_e32 v21, 16, v1
	s_delay_alu instid0(VALU_DEP_2) | instskip(NEXT) | instid1(VALU_DEP_2)
	v_mul_f16_e32 v108, v1, v5
	v_mul_f16_e32 v5, v21, v5
	s_delay_alu instid0(VALU_DEP_2) | instskip(NEXT) | instid1(VALU_DEP_2)
	v_fmac_f16_e32 v108, v21, v3
	v_fma_f16 v1, v1, v3, -v5
	v_pack_b32_f16 v3, v4, v6
	s_delay_alu instid0(VALU_DEP_2) | instskip(SKIP_3) | instid1(VALU_DEP_1)
	v_pack_b32_f16 v1, v1, v108
	ds_store_2addr_b32 v27, v3, v1 offset0:105 offset1:240
	v_lshrrev_b32_e32 v1, 16, v9
	v_lshrrev_b32_e32 v3, 16, v23
	v_mul_f16_e32 v4, v1, v3
	v_mul_f16_e32 v5, v9, v3
	s_delay_alu instid0(VALU_DEP_2)
	v_fma_f16 v6, v9, v23, -v4
	ds_load_2addr_b32 v[3:4], v179 offset0:26 offset1:161
	v_fmac_f16_e32 v5, v1, v23
	v_lshrrev_b32_e32 v1, 16, v15
	s_waitcnt lgkmcnt(0)
	v_lshrrev_b32_e32 v9, 16, v3
	s_delay_alu instid0(VALU_DEP_2) | instskip(NEXT) | instid1(VALU_DEP_2)
	v_mul_f16_e32 v21, v3, v1
	v_mul_f16_e32 v1, v9, v1
	s_delay_alu instid0(VALU_DEP_2) | instskip(NEXT) | instid1(VALU_DEP_2)
	v_fmac_f16_e32 v21, v9, v15
	v_fma_f16 v1, v3, v15, -v1
	v_pack_b32_f16 v3, v17, v18
	s_delay_alu instid0(VALU_DEP_2)
	v_pack_b32_f16 v1, v1, v21
	ds_store_2addr_b32 v20, v3, v1 offset0:19 offset1:154
	v_pack_b32_f16 v1, v10, v25
	v_pack_b32_f16 v3, v6, v5
	ds_store_2addr_b32 v216, v3, v1 offset0:77 offset1:212
	v_lshrrev_b32_e32 v1, 16, v0
	v_lshrrev_b32_e32 v3, 16, v22
	s_delay_alu instid0(VALU_DEP_1) | instskip(SKIP_1) | instid1(VALU_DEP_2)
	v_mul_f16_e32 v5, v1, v3
	v_mul_f16_e32 v3, v0, v3
	v_fma_f16 v0, v0, v22, -v5
	s_delay_alu instid0(VALU_DEP_2) | instskip(SKIP_2) | instid1(VALU_DEP_3)
	v_fmac_f16_e32 v3, v1, v22
	v_lshrrev_b32_e32 v1, 16, v2
	v_lshrrev_b32_e32 v5, 16, v8
	v_pack_b32_f16 v0, v0, v3
	v_lshrrev_b32_e32 v3, 16, v26
	s_delay_alu instid0(VALU_DEP_3) | instskip(SKIP_1) | instid1(VALU_DEP_2)
	v_mul_f16_e32 v6, v1, v5
	v_mul_f16_e32 v5, v2, v5
	v_fma_f16 v2, v2, v8, -v6
	s_delay_alu instid0(VALU_DEP_2)
	v_fmac_f16_e32 v5, v1, v8
	v_pack_b32_f16 v1, v19, v107
	ds_store_2addr_b32 v161, v1, v0 offset0:91 offset1:226
	v_pack_b32_f16 v0, v12, v11
	v_pack_b32_f16 v1, v2, v5
	ds_store_2addr_b32 v28, v1, v0 offset0:119 offset1:254
	v_lshrrev_b32_e32 v0, 16, v4
	v_lshrrev_b32_e32 v1, 16, v16
	s_delay_alu instid0(VALU_DEP_1) | instskip(SKIP_1) | instid1(VALU_DEP_2)
	v_mul_f16_e32 v2, v0, v1
	v_mul_f16_e32 v1, v4, v1
	v_fma_f16 v2, v4, v16, -v2
	s_delay_alu instid0(VALU_DEP_2) | instskip(SKIP_1) | instid1(VALU_DEP_2)
	v_fmac_f16_e32 v1, v0, v16
	v_lshrrev_b32_e32 v0, 16, v14
	v_pack_b32_f16 v1, v2, v1
	s_delay_alu instid0(VALU_DEP_2) | instskip(SKIP_1) | instid1(VALU_DEP_2)
	v_mul_f16_e32 v4, v0, v3
	v_mul_f16_e32 v3, v14, v3
	v_fma_f16 v4, v14, v26, -v4
	s_delay_alu instid0(VALU_DEP_2)
	v_fmac_f16_e32 v3, v0, v26
	v_pack_b32_f16 v0, v7, v13
	ds_store_2addr_b32 v24, v1, v0 offset0:33 offset1:168
	v_pack_b32_f16 v0, v4, v3
	ds_store_b32 v175, v0 offset:15660
	s_waitcnt lgkmcnt(0)
	s_barrier
	buffer_gl0_inv
	ds_load_2addr_b32 v[107:108], v171 offset0:62 offset1:197
	ds_load_2addr_b32 v[34:35], v170 offset0:40 offset1:175
	;; [unrolled: 1-line block ×4, first 2 shown]
	ds_load_2addr_b32 v[161:162], v175 offset1:135
	ds_load_2addr_b32 v[41:42], v174 offset0:12 offset1:147
	ds_load_2addr_b32 v[30:31], v167 offset0:54 offset1:189
	;; [unrolled: 1-line block ×5, first 2 shown]
	s_waitcnt lgkmcnt(9)
	v_lshrrev_b32_e32 v2, 16, v107
	s_waitcnt lgkmcnt(7)
	v_lshrrev_b32_e32 v12, 16, v10
	;; [unrolled: 2-line block ×3, first 2 shown]
	v_lshrrev_b32_e32 v4, 16, v34
	s_waitcnt lgkmcnt(5)
	v_lshrrev_b32_e32 v9, 16, v161
	v_sub_f16_e32 v45, v39, v107
	v_sub_f16_e32 v44, v10, v34
	v_add_f16_e32 v6, v5, v2
	v_sub_f16_e32 v7, v2, v4
	v_sub_f16_e32 v0, v107, v34
	;; [unrolled: 1-line block ×4, first 2 shown]
	v_fma_f16 v26, -0.5, v6, v9
	v_add_f16_e32 v6, v12, v4
	s_waitcnt lgkmcnt(1)
	v_lshrrev_b32_e32 v20, 16, v29
	v_add_f16_e32 v0, v1, v0
	v_add_f16_e32 v1, v10, v34
	v_lshrrev_b32_e32 v21, 16, v42
	v_fmac_f16_e32 v9, -0.5, v6
	v_sub_f16_e32 v6, v5, v12
	v_sub_f16_e32 v46, v12, v4
	v_fma_f16 v23, -0.5, v1, v161
	v_sub_f16_e32 v43, v20, v21
	v_fmamk_f16 v16, v45, 0xbb9c, v9
	v_fmac_f16_e32 v9, 0x3b9c, v45
	v_add_f16_e32 v6, v6, v7
	v_sub_f16_e32 v7, v29, v33
	v_fmamk_f16 v24, v48, 0x3b9c, v23
	v_fmac_f16_e32 v16, 0x38b4, v44
	v_fmac_f16_e32 v9, 0xb8b4, v44
	;; [unrolled: 1-line block ×3, first 2 shown]
	v_lshrrev_b32_e32 v138, 16, v33
	v_lshrrev_b32_e32 v139, 16, v31
	v_fmac_f16_e32 v16, 0x34f2, v6
	v_fmac_f16_e32 v9, 0x34f2, v6
	v_sub_f16_e32 v6, v42, v31
	v_fmac_f16_e32 v24, 0xb8b4, v46
	v_fmac_f16_e32 v23, 0x38b4, v46
	v_sub_f16_e64 v38, v138, v139
	v_sub_f16_e32 v2, v4, v2
	v_add_f16_e32 v6, v7, v6
	v_add_f16_e32 v7, v33, v31
	v_fmac_f16_e32 v24, 0x34f2, v0
	v_fmac_f16_e32 v23, 0x34f2, v0
	v_sub_f16_e32 v0, v12, v5
	s_waitcnt lgkmcnt(0)
	v_lshrrev_b32_e32 v115, 16, v169
	v_fma_f16 v7, -0.5, v7, v169
	v_sub_f16_e32 v27, v33, v31
	v_sub_f16_e32 v4, v34, v107
	v_add_f16_e32 v47, v0, v2
	v_sub_f16_e64 v2, v138, v20
	v_fmamk_f16 v22, v43, 0x3b9c, v7
	v_fmac_f16_e32 v7, 0xbb9c, v43
	v_sub_f16_e64 v0, v139, v21
	v_sub_f16_e32 v5, v10, v39
	v_sub_f16_e32 v37, v29, v42
	v_fmac_f16_e32 v22, 0xb8b4, v38
	v_fmac_f16_e32 v7, 0x38b4, v38
	v_add_f16_e32 v17, v2, v0
	v_add_f16_e32 v2, v29, v42
	;; [unrolled: 1-line block ×3, first 2 shown]
	v_fmac_f16_e32 v22, 0x34f2, v6
	v_fmac_f16_e32 v7, 0x34f2, v6
	v_add_f16_e32 v6, v20, v21
	v_sub_f16_e32 v4, v31, v42
	v_sub_f16_e32 v5, v33, v29
	v_fma_f16 v1, -0.5, v2, v169
	v_sub_f16_e64 v116, v21, v139
	v_fma_f16 v8, -0.5, v6, v115
	v_add_f16_e64 v6, v138, v139
	v_add_f16_e32 v5, v5, v4
	v_fmamk_f16 v4, v38, 0xbb9c, v1
	v_pk_add_f16 v12, v169, v33
	v_fmamk_f16 v2, v27, 0x3b9c, v8
	v_fmac_f16_e32 v115, -0.5, v6
	v_sub_f16_e64 v6, v20, v138
	v_fmac_f16_e32 v4, 0xb8b4, v43
	v_pk_add_f16 v12, v12, v29
	v_fmac_f16_e32 v2, 0x38b4, v37
	v_fmamk_f16 v29, v44, 0x3b9c, v26
	v_add_f16_e32 v6, v6, v116
	v_fmac_f16_e32 v4, 0x34f2, v5
	v_fmamk_f16 v116, v37, 0xbb9c, v115
	v_fmac_f16_e32 v2, 0x34f2, v17
	v_fmac_f16_e32 v115, 0x3b9c, v37
	v_pk_add_f16 v10, v161, v10
	v_fmac_f16_e32 v29, 0x38b4, v45
	v_fmac_f16_e32 v116, 0x38b4, v27
	v_mul_f16_e32 v3, 0xb8b4, v2
	v_fmac_f16_e32 v115, 0xb8b4, v27
	v_pk_add_f16 v10, v10, v39
	v_pk_add_f16 v12, v12, v42
	v_fmac_f16_e32 v116, 0x34f2, v6
	v_fmac_f16_e32 v3, 0x3a79, v4
	v_mul_f16_e32 v4, 0x38b4, v4
	v_fmac_f16_e32 v115, 0x34f2, v6
	v_fmac_f16_e32 v29, 0x34f2, v47
	v_mul_f16_e32 v6, 0xbb9c, v116
	v_pk_add_f16 v10, v10, v107
	v_fmac_f16_e32 v4, 0x3a79, v2
	v_add_f16_e32 v2, v39, v107
	v_mul_f16_e32 v25, 0xbb9c, v115
	v_mul_f16_e32 v18, 0xb4f2, v115
	v_fmac_f16_e32 v6, 0x34f2, v22
	v_pk_add_f16 v31, v12, v31
	v_fma_f16 v2, -0.5, v2, v161
	v_fmac_f16_e32 v25, 0xb4f2, v7
	v_fmac_f16_e32 v18, 0x3b9c, v7
	v_mul_f16_e32 v7, 0x34f2, v116
	v_add_f16_e32 v13, v29, v4
	v_fmamk_f16 v0, v46, 0xbb9c, v2
	v_pk_add_f16 v10, v10, v34
	v_add_f16_e32 v115, v9, v18
	v_fmac_f16_e32 v7, 0x3b9c, v22
	v_add_f16_e32 v22, v23, v25
	v_fmac_f16_e32 v0, 0xb8b4, v48
	v_fmac_f16_e32 v8, 0xbb9c, v27
	;; [unrolled: 1-line block ×3, first 2 shown]
	v_pk_add_f16 v138, v10, v31
	v_pack_b32_f16 v116, v22, v115
	v_fmac_f16_e32 v0, 0x34f2, v36
	v_add_f16_e32 v22, v24, v6
	v_add_f16_e32 v115, v16, v7
	v_fmac_f16_e32 v8, 0xb8b4, v37
	v_sub_f16_e32 v4, v29, v4
	v_add_f16_e32 v12, v0, v3
	v_sub_f16_e32 v0, v0, v3
	v_pack_b32_f16 v115, v22, v115
	v_sub_f16_e32 v3, v24, v6
	v_sub_f16_e32 v6, v16, v7
	v_pack_b32_f16 v139, v12, v13
	ds_load_2addr_b32 v[21:22], v153 offset0:28 offset1:163
	ds_load_2addr_b32 v[33:34], v212 offset0:70 offset1:205
	ds_load_2addr_b32 v[14:15], v189 offset0:112 offset1:247
	ds_load_2addr_b32 v[12:13], v179 offset0:26 offset1:161
	ds_load_2addr_b32 v[19:20], v156 offset0:68 offset1:203
	s_waitcnt lgkmcnt(0)
	s_barrier
	buffer_gl0_inv
	scratch_load_b32 v39, off, off offset:248 ; 4-byte Folded Reload
	v_fmac_f16_e32 v2, 0x3b9c, v46
	v_fmac_f16_e32 v26, 0xbb9c, v44
	;; [unrolled: 1-line block ×4, first 2 shown]
	v_sub_f16_e32 v7, v11, v40
	v_fmac_f16_e32 v2, 0x38b4, v48
	v_fmac_f16_e32 v26, 0xb8b4, v45
	;; [unrolled: 1-line block ×3, first 2 shown]
	v_sub_f16_e32 v16, v11, v35
	v_sub_f16_e32 v5, v40, v108
	v_fmac_f16_e32 v2, 0x34f2, v36
	v_fmac_f16_e32 v26, 0x34f2, v47
	v_lshrrev_b32_e32 v36, 16, v33
	v_lshrrev_b32_e32 v29, 16, v12
	;; [unrolled: 1-line block ×3, first 2 shown]
	v_sub_f16_e32 v44, v33, v19
	s_delay_alu instid0(VALU_DEP_2) | instskip(NEXT) | instid1(VALU_DEP_4)
	v_sub_f16_e32 v38, v36, v37
	v_sub_f16_e32 v42, v29, v37
	s_waitcnt vmcnt(0)
	ds_store_2addr_b64 v39, v[138:139], v[115:116] offset1:1
	v_pack_b32_f16 v116, v3, v6
	v_pack_b32_f16 v115, v0, v4
	v_mul_f16_e32 v0, 0xb8b4, v8
	v_mul_f16_e32 v3, 0xba79, v8
	v_pk_add_f16 v139, v10, v31 neg_lo:[0,1] neg_hi:[0,1]
	v_lshrrev_b32_e32 v6, 16, v40
	v_sub_f16_e32 v8, v40, v11
	v_fmac_f16_e32 v0, 0xba79, v1
	v_fmac_f16_e32 v3, 0x38b4, v1
	v_lshrrev_b32_e32 v10, 16, v11
	s_delay_alu instid0(VALU_DEP_3) | instskip(NEXT) | instid1(VALU_DEP_3)
	v_add_f16_e32 v1, v2, v0
	v_add_f16_e32 v4, v26, v3
	v_sub_f16_e32 v0, v2, v0
	v_sub_f16_e32 v2, v26, v3
	v_sub_f16_e32 v3, v9, v18
	v_add_f16_e32 v9, v11, v35
	v_pack_b32_f16 v138, v1, v4
	v_sub_f16_e32 v1, v23, v25
	v_sub_f16_e32 v4, v108, v35
	v_lshrrev_b32_e32 v26, 16, v14
	v_fma_f16 v17, -0.5, v9, v162
	ds_store_2addr_b64 v39, v[138:139], v[115:116] offset0:2 offset1:3
	v_pack_b32_f16 v116, v0, v2
	v_lshrrev_b32_e32 v2, 16, v108
	v_pk_add_f16 v0, v162, v11
	v_lshrrev_b32_e32 v11, 16, v35
	v_add_f16_e32 v4, v8, v4
	v_sub_f16_e32 v31, v26, v29
	v_sub_f16_e32 v18, v6, v2
	v_add_f16_e32 v8, v6, v2
	v_sub_f16_e32 v24, v10, v11
	v_sub_f16_e32 v9, v2, v11
	v_pk_add_f16 v0, v0, v40
	v_fmamk_f16 v23, v18, 0x3b9c, v17
	v_fmac_f16_e32 v17, 0xbb9c, v18
	v_pack_b32_f16 v115, v1, v3
	v_sub_f16_e32 v3, v35, v108
	v_pk_add_f16 v0, v0, v108
	v_fmac_f16_e32 v23, 0xb8b4, v24
	v_fmac_f16_e32 v17, 0x38b4, v24
	ds_store_b64 v39, v[115:116] offset:32
	v_lshrrev_b32_e32 v39, 16, v21
	v_pk_add_f16 v0, v0, v35
	v_fmac_f16_e32 v23, 0x34f2, v4
	v_fmac_f16_e32 v17, 0x34f2, v4
	v_lshrrev_b32_e32 v4, 16, v162
	v_add_f16_e32 v1, v40, v108
	v_sub_f16_e32 v2, v11, v2
	v_add_f16_e32 v3, v7, v3
	v_sub_f16_e32 v7, v37, v29
	v_fma_f16 v27, -0.5, v8, v4
	v_add_f16_e32 v8, v10, v11
	v_sub_f16_e32 v11, v33, v14
	v_fma_f16 v1, -0.5, v1, v162
	s_delay_alu instid0(VALU_DEP_3) | instskip(SKIP_3) | instid1(VALU_DEP_4)
	v_fmac_f16_e32 v4, -0.5, v8
	v_sub_f16_e32 v8, v6, v10
	v_sub_f16_e32 v6, v10, v6
	v_sub_f16_e32 v10, v19, v12
	v_fmamk_f16 v25, v5, 0xbb9c, v4
	v_fmac_f16_e32 v4, 0x3b9c, v5
	v_add_f16_e32 v8, v8, v9
	v_sub_f16_e32 v9, v14, v33
	v_add_f16_e32 v2, v6, v2
	v_fmac_f16_e32 v25, 0x38b4, v16
	v_fmac_f16_e32 v4, 0xb8b4, v16
	v_sub_f16_e32 v6, v36, v26
	s_delay_alu instid0(VALU_DEP_3) | instskip(NEXT) | instid1(VALU_DEP_3)
	v_fmac_f16_e32 v25, 0x34f2, v8
	v_fmac_f16_e32 v4, 0x34f2, v8
	v_sub_f16_e32 v8, v12, v19
	s_delay_alu instid0(VALU_DEP_4) | instskip(SKIP_1) | instid1(VALU_DEP_3)
	v_add_f16_e32 v6, v6, v7
	v_add_f16_e32 v7, v14, v12
	;; [unrolled: 1-line block ×4, first 2 shown]
	s_delay_alu instid0(VALU_DEP_3) | instskip(NEXT) | instid1(VALU_DEP_2)
	v_fma_f16 v7, -0.5, v7, v21
	v_fma_f16 v9, -0.5, v9, v21
	s_delay_alu instid0(VALU_DEP_1) | instskip(SKIP_1) | instid1(VALU_DEP_2)
	v_fmamk_f16 v35, v31, 0x3b9c, v9
	v_fmac_f16_e32 v9, 0xbb9c, v31
	v_fmac_f16_e32 v35, 0xb8b4, v38
	s_delay_alu instid0(VALU_DEP_2) | instskip(NEXT) | instid1(VALU_DEP_2)
	v_fmac_f16_e32 v9, 0x38b4, v38
	v_fmac_f16_e32 v35, 0x34f2, v8
	s_delay_alu instid0(VALU_DEP_2) | instskip(SKIP_1) | instid1(VALU_DEP_1)
	v_fmac_f16_e32 v9, 0x34f2, v8
	v_add_f16_e32 v8, v26, v29
	v_fma_f16 v40, -0.5, v8, v39
	v_add_f16_e32 v8, v36, v37
	s_delay_alu instid0(VALU_DEP_1)
	v_fmac_f16_e32 v39, -0.5, v8
	v_sub_f16_e32 v8, v26, v36
	v_add_f16_e32 v26, v11, v10
	v_fmamk_f16 v10, v44, 0x3b9c, v40
	v_fmamk_f16 v11, v38, 0xbb9c, v7
	v_fmac_f16_e32 v40, 0xbb9c, v44
	v_add_f16_e32 v8, v8, v42
	v_sub_f16_e32 v42, v14, v12
	v_fmac_f16_e32 v7, 0x3b9c, v38
	v_fmac_f16_e32 v11, 0xb8b4, v31
	s_delay_alu instid0(VALU_DEP_3) | instskip(SKIP_2) | instid1(VALU_DEP_4)
	v_fmamk_f16 v43, v42, 0xbb9c, v39
	v_fmac_f16_e32 v39, 0x3b9c, v42
	v_fmac_f16_e32 v10, 0x38b4, v42
	;; [unrolled: 1-line block ×11, first 2 shown]
	v_mul_f16_e32 v29, 0xb8b4, v10
	v_pk_add_f16 v6, v21, v33
	v_fmac_f16_e32 v7, 0x34f2, v26
	v_mul_f16_e32 v46, 0xbb9c, v43
	v_mul_f16_e32 v45, 0xbb9c, v39
	;; [unrolled: 1-line block ×4, first 2 shown]
	v_fmac_f16_e32 v29, 0x3a79, v11
	v_fmac_f16_e32 v46, 0x34f2, v35
	;; [unrolled: 1-line block ×5, first 2 shown]
	v_pk_add_f16 v6, v6, v14
	v_lshrrev_b32_e32 v14, 16, v30
	v_add_f16_e32 v8, v17, v45
	v_add_f16_e32 v9, v4, v39
	;; [unrolled: 1-line block ×3, first 2 shown]
	v_pk_add_f16 v6, v6, v12
	s_delay_alu instid0(VALU_DEP_3) | instskip(SKIP_1) | instid1(VALU_DEP_3)
	v_pack_b32_f16 v9, v8, v9
	v_add_f16_e32 v8, v23, v46
	v_pk_add_f16 v6, v6, v19
	s_delay_alu instid0(VALU_DEP_2)
	v_pack_b32_f16 v8, v8, v35
	v_mul_f16_e32 v35, 0x38b4, v11
	v_sub_f16_e32 v11, v25, v43
	v_fmamk_f16 v25, v16, 0x3b9c, v27
	v_fmac_f16_e32 v27, 0xbb9c, v16
	v_pk_add_f16 v108, v0, v6 neg_lo:[0,1] neg_hi:[0,1]
	v_fmac_f16_e32 v35, 0x3a79, v10
	v_sub_f16_e32 v10, v23, v46
	v_fmamk_f16 v23, v24, 0xbb9c, v1
	v_fmac_f16_e32 v1, 0x3b9c, v24
	v_fmac_f16_e32 v25, 0x38b4, v5
	;; [unrolled: 1-line block ×3, first 2 shown]
	v_pack_b32_f16 v11, v10, v11
	v_fmac_f16_e32 v23, 0xb8b4, v18
	v_fmac_f16_e32 v1, 0x38b4, v18
	;; [unrolled: 1-line block ×4, first 2 shown]
	v_mul_f16_e32 v2, 0xb8b4, v40
	v_fmac_f16_e32 v23, 0x34f2, v3
	v_fmac_f16_e32 v1, 0x34f2, v3
	v_mul_f16_e32 v3, 0xba79, v40
	v_add_f16_e32 v5, v25, v35
	v_fmac_f16_e32 v2, 0xba79, v7
	v_add_f16_e32 v16, v23, v29
	v_sub_f16_e32 v36, v25, v35
	v_fmac_f16_e32 v3, 0x38b4, v7
	v_pk_add_f16 v25, v0, v6
	v_add_f16_e32 v0, v1, v2
	v_pack_b32_f16 v26, v16, v5
	v_sub_f16_e32 v10, v23, v29
	v_add_f16_e32 v5, v27, v3
	v_sub_f16_e32 v1, v1, v2
	v_sub_f16_e32 v2, v27, v3
	;; [unrolled: 1-line block ×3, first 2 shown]
	v_pack_b32_f16 v10, v10, v36
	v_pack_b32_f16 v107, v0, v5
	v_sub_f16_e32 v0, v17, v45
	ds_store_2addr_b64 v197, v[25:26], v[8:9] offset1:1
	ds_store_2addr_b64 v197, v[107:108], v[10:11] offset0:2 offset1:3
	v_pack_b32_f16 v9, v1, v2
	v_pack_b32_f16 v8, v0, v3
	v_pk_add_f16 v0, v168, v32
	v_lshrrev_b32_e32 v2, 16, v41
	v_sub_f16_e32 v4, v41, v30
	v_lshrrev_b32_e32 v6, 16, v28
	ds_store_b64 v197, v[8:9] offset:32
	v_pk_add_f16 v0, v0, v28
	v_sub_f16_e32 v8, v28, v32
	v_add_f16_e32 v10, v32, v30
	v_lshrrev_b32_e32 v9, 16, v32
	v_lshrrev_b32_e32 v18, 16, v168
	v_pk_add_f16 v0, v0, v41
	v_add_f16_e32 v1, v28, v41
	v_sub_f16_e32 v5, v28, v41
	v_sub_f16_e32 v16, v9, v14
	;; [unrolled: 1-line block ×3, first 2 shown]
	v_pk_add_f16 v12, v0, v30
	v_add_f16_e32 v0, v8, v4
	v_fma_f16 v8, -0.5, v10, v168
	v_sub_f16_e32 v4, v6, v2
	v_fma_f16 v17, -0.5, v1, v168
	v_sub_f16_e32 v1, v2, v14
	v_lshrrev_b32_e32 v23, 16, v13
	v_sub_f16_e32 v24, v20, v13
	v_fmamk_f16 v10, v4, 0x3b9c, v8
	v_fmac_f16_e32 v8, 0xbb9c, v4
	v_sub_f16_e32 v25, v13, v20
	v_lshrrev_b32_e32 v26, 16, v15
	v_sub_f16_e32 v27, v34, v15
	v_fmac_f16_e32 v10, 0xb8b4, v16
	v_fmac_f16_e32 v8, 0x38b4, v16
	v_add_f16_e32 v29, v34, v20
	v_sub_f16_e32 v3, v30, v41
	v_sub_f16_e32 v7, v32, v28
	v_fmac_f16_e32 v10, 0x34f2, v0
	v_fmac_f16_e32 v8, 0x34f2, v0
	v_add_f16_e32 v0, v6, v2
	v_lshrrev_b32_e32 v28, 16, v34
	v_sub_f16_e32 v30, v34, v20
	v_sub_f16_e32 v2, v14, v2
	v_add_f16_e32 v7, v7, v3
	v_fma_f16 v19, -0.5, v0, v18
	v_add_f16_e32 v0, v9, v14
	s_delay_alu instid0(VALU_DEP_1) | instskip(SKIP_3) | instid1(VALU_DEP_4)
	v_fmac_f16_e32 v18, -0.5, v0
	v_sub_f16_e32 v0, v6, v9
	v_sub_f16_e32 v6, v9, v6
	;; [unrolled: 1-line block ×3, first 2 shown]
	v_fmamk_f16 v21, v5, 0xbb9c, v18
	v_fmac_f16_e32 v18, 0x3b9c, v5
	v_add_f16_e32 v0, v0, v1
	v_add_f16_e32 v1, v15, v13
	;; [unrolled: 1-line block ×3, first 2 shown]
	v_fmac_f16_e32 v21, 0x38b4, v11
	v_fmac_f16_e32 v18, 0xb8b4, v11
	s_delay_alu instid0(VALU_DEP_4) | instskip(SKIP_1) | instid1(VALU_DEP_4)
	v_fma_f16 v33, -0.5, v1, v22
	v_add_f16_e32 v1, v26, v23
	v_fmac_f16_e32 v21, 0x34f2, v0
	s_delay_alu instid0(VALU_DEP_4) | instskip(SKIP_1) | instid1(VALU_DEP_1)
	v_fmac_f16_e32 v18, 0x34f2, v0
	v_pk_add_f16 v0, v22, v34
	v_pk_add_f16 v0, v0, v15
	s_delay_alu instid0(VALU_DEP_1) | instskip(SKIP_2) | instid1(VALU_DEP_3)
	v_pk_add_f16 v0, v0, v13
	v_sub_f16_e32 v13, v15, v13
	v_sub_f16_e32 v15, v15, v34
	v_pk_add_f16 v31, v0, v20
	v_lshrrev_b32_e32 v20, 16, v20
	s_delay_alu instid0(VALU_DEP_3) | instskip(SKIP_2) | instid1(VALU_DEP_4)
	v_add_f16_e32 v0, v15, v25
	v_fma_f16 v15, -0.5, v29, v22
	v_sub_f16_e32 v25, v26, v23
	v_sub_f16_e32 v32, v28, v20
	;; [unrolled: 1-line block ×4, first 2 shown]
	s_delay_alu instid0(VALU_DEP_4)
	v_fmamk_f16 v29, v25, 0x3b9c, v15
	v_fmac_f16_e32 v15, 0xbb9c, v25
	v_fmamk_f16 v3, v32, 0xbb9c, v33
	v_fmac_f16_e32 v33, 0x3b9c, v32
	v_add_f16_e32 v9, v9, v14
	v_fmac_f16_e32 v29, 0xb8b4, v32
	v_fmac_f16_e32 v15, 0x38b4, v32
	;; [unrolled: 1-line block ×4, first 2 shown]
	s_delay_alu instid0(VALU_DEP_4) | instskip(NEXT) | instid1(VALU_DEP_4)
	v_fmac_f16_e32 v29, 0x34f2, v0
	v_fmac_f16_e32 v15, 0x34f2, v0
	v_lshrrev_b32_e32 v0, 16, v22
	s_delay_alu instid0(VALU_DEP_1) | instskip(SKIP_2) | instid1(VALU_DEP_3)
	v_fma_f16 v22, -0.5, v1, v0
	v_add_f16_e32 v1, v28, v20
	v_add_f16_e32 v20, v27, v24
	v_fmamk_f16 v2, v30, 0x3b9c, v22
	s_delay_alu instid0(VALU_DEP_3) | instskip(SKIP_1) | instid1(VALU_DEP_4)
	v_fmac_f16_e32 v0, -0.5, v1
	v_sub_f16_e32 v1, v26, v28
	v_fmac_f16_e32 v3, 0x34f2, v20
	v_fmac_f16_e32 v22, 0xbb9c, v30
	;; [unrolled: 1-line block ×4, first 2 shown]
	v_add_f16_e32 v1, v1, v34
	v_fmamk_f16 v34, v13, 0xbb9c, v0
	v_fmac_f16_e32 v0, 0x3b9c, v13
	v_fmac_f16_e32 v2, 0x34f2, v9
	v_mul_f16_e32 v23, 0x38b4, v3
	v_fmac_f16_e32 v22, 0xb8b4, v13
	v_fmac_f16_e32 v34, 0x38b4, v30
	;; [unrolled: 1-line block ×3, first 2 shown]
	v_mul_f16_e32 v14, 0xb8b4, v2
	v_fmac_f16_e32 v23, 0x3a79, v2
	v_fmac_f16_e32 v22, 0x34f2, v9
	;; [unrolled: 1-line block ×5, first 2 shown]
	s_delay_alu instid0(VALU_DEP_4) | instskip(NEXT) | instid1(VALU_DEP_3)
	v_mul_f16_e32 v9, 0xb8b4, v22
	v_mul_f16_e32 v35, 0xbb9c, v0
	;; [unrolled: 1-line block ×3, first 2 shown]
	s_delay_alu instid0(VALU_DEP_3) | instskip(NEXT) | instid1(VALU_DEP_3)
	v_fmac_f16_e32 v9, 0xba79, v33
	v_fmac_f16_e32 v35, 0xb4f2, v15
	s_delay_alu instid0(VALU_DEP_3) | instskip(SKIP_2) | instid1(VALU_DEP_4)
	v_fmac_f16_e32 v36, 0x3b9c, v15
	v_mul_f16_e32 v15, 0xbb9c, v34
	v_mul_f16_e32 v34, 0x34f2, v34
	v_add_f16_e32 v0, v8, v35
	s_delay_alu instid0(VALU_DEP_4) | instskip(NEXT) | instid1(VALU_DEP_4)
	v_add_f16_e32 v1, v18, v36
	v_fmac_f16_e32 v15, 0x34f2, v29
	s_delay_alu instid0(VALU_DEP_4) | instskip(NEXT) | instid1(VALU_DEP_3)
	v_fmac_f16_e32 v34, 0x3b9c, v29
	v_pack_b32_f16 v1, v0, v1
	s_delay_alu instid0(VALU_DEP_3)
	v_add_f16_e32 v0, v10, v15
	v_sub_f16_e32 v2, v10, v15
	v_fmamk_f16 v10, v16, 0xbb9c, v17
	v_fmamk_f16 v15, v11, 0x3b9c, v19
	v_fmac_f16_e32 v17, 0x3b9c, v16
	v_fmac_f16_e32 v19, 0xbb9c, v11
	v_sub_f16_e32 v3, v21, v34
	v_fmac_f16_e32 v10, 0xb8b4, v4
	v_fmac_f16_e32 v15, 0x38b4, v5
	;; [unrolled: 1-line block ×4, first 2 shown]
	v_mul_f16_e32 v11, 0xba79, v22
	v_fmac_f16_e32 v10, 0x34f2, v7
	v_fmac_f16_e32 v15, 0x34f2, v6
	v_pack_b32_f16 v3, v2, v3
	v_fmac_f16_e32 v17, 0x34f2, v7
	v_fmac_f16_e32 v19, 0x34f2, v6
	v_sub_f16_e32 v2, v10, v14
	v_add_f16_e32 v10, v10, v14
	v_add_f16_e32 v4, v15, v23
	v_fmac_f16_e32 v11, 0x38b4, v33
	v_add_f16_e32 v29, v21, v34
	v_sub_f16_e32 v21, v15, v23
	v_add_f16_e32 v6, v17, v9
	v_pack_b32_f16 v5, v10, v4
	v_add_f16_e32 v10, v19, v11
	v_pack_b32_f16 v0, v0, v29
	v_pk_add_f16 v4, v12, v31
	v_pack_b32_f16 v2, v2, v21
	v_pk_add_f16 v7, v12, v31 neg_lo:[0,1] neg_hi:[0,1]
	v_pack_b32_f16 v6, v6, v10
	ds_store_2addr_b64 v196, v[4:5], v[0:1] offset1:1
	ds_store_2addr_b64 v196, v[6:7], v[2:3] offset0:2 offset1:3
	v_sub_f16_e32 v0, v8, v35
	v_sub_f16_e32 v1, v17, v9
	;; [unrolled: 1-line block ×4, first 2 shown]
	v_lshrrev_b32_e32 v12, 16, v122
	v_lshrrev_b32_e32 v15, 16, v123
	s_delay_alu instid0(VALU_DEP_4) | instskip(NEXT) | instid1(VALU_DEP_4)
	v_pack_b32_f16 v1, v1, v2
	v_pack_b32_f16 v0, v0, v3
	v_lshrrev_b32_e32 v3, 16, v120
	ds_store_b64 v196, v[0:1] offset:32
	s_waitcnt lgkmcnt(0)
	s_barrier
	buffer_gl0_inv
	ds_load_2addr_b32 v[0:1], v183 offset0:42 offset1:177
	s_waitcnt lgkmcnt(0)
	v_lshrrev_b32_e32 v2, 16, v0
	v_mul_f16_e32 v4, v3, v0
	s_delay_alu instid0(VALU_DEP_2) | instskip(NEXT) | instid1(VALU_DEP_2)
	v_mul_f16_e32 v3, v3, v2
	v_fma_f16 v11, v120, v2, -v4
	ds_load_2addr_b32 v[4:5], v180 offset0:84 offset1:219
	v_lshrrev_b32_e32 v2, 16, v121
	v_fmac_f16_e32 v3, v120, v0
	v_lshrrev_b32_e32 v0, 16, v1
	s_delay_alu instid0(VALU_DEP_1) | instskip(NEXT) | instid1(VALU_DEP_1)
	v_mul_f16_e64 v196, v157, v0
	v_fmac_f16_e64 v196, v124, v1
	v_mul_f16_e64 v1, v157, v1
	s_waitcnt lgkmcnt(0)
	v_lshrrev_b32_e32 v6, 16, v4
	v_mul_f16_e32 v7, v2, v4
	s_delay_alu instid0(VALU_DEP_2) | instskip(NEXT) | instid1(VALU_DEP_2)
	v_mul_f16_e32 v2, v2, v6
	v_fma_f16 v10, v121, v6, -v7
	ds_load_2addr_b32 v[6:7], v171 offset0:62 offset1:197
	v_fmac_f16_e32 v2, v121, v4
	v_lshrrev_b32_e32 v4, 16, v5
	s_delay_alu instid0(VALU_DEP_1) | instskip(NEXT) | instid1(VALU_DEP_1)
	v_mul_f16_e64 v197, v163, v4
	v_fmac_f16_e64 v197, v125, v5
	v_mul_f16_e64 v5, v163, v5
	s_waitcnt lgkmcnt(0)
	v_lshrrev_b32_e32 v8, 16, v6
	v_mul_f16_e32 v9, v12, v6
	s_delay_alu instid0(VALU_DEP_3) | instskip(NEXT) | instid1(VALU_DEP_3)
	v_fma_f16 v115, v125, v4, -v5
	v_mul_f16_e32 v107, v12, v8
	ds_load_2addr_b32 v[12:13], v170 offset0:40 offset1:175
	v_fma_f16 v9, v122, v8, -v9
	v_fmac_f16_e32 v107, v122, v6
	s_delay_alu instid0(VALU_DEP_2) | instskip(SKIP_1) | instid1(VALU_DEP_3)
	v_add_f16_e32 v33, v10, v9
	v_sub_f16_e32 v32, v10, v9
	v_sub_f16_e32 v36, v2, v107
	s_waitcnt lgkmcnt(0)
	v_lshrrev_b32_e32 v8, 16, v12
	v_mul_f16_e32 v14, v15, v12
	v_lshrrev_b32_e32 v16, 16, v13
	v_mul_f16_e64 v17, v158, v13
	s_delay_alu instid0(VALU_DEP_4) | instskip(NEXT) | instid1(VALU_DEP_4)
	v_mul_f16_e32 v26, v15, v8
	v_fma_f16 v8, v123, v8, -v14
	v_lshrrev_b32_e32 v14, 16, v7
	v_mul_f16_e64 v15, v159, v7
	v_fma_f16 v120, v127, v16, -v17
	v_fmac_f16_e32 v26, v123, v12
	v_fma_f16 v12, v124, v0, -v1
	ds_load_2addr_b32 v[0:1], v182 offset0:56 offset1:191
	v_mul_f16_e64 v6, v159, v14
	v_fma_f16 v116, v126, v14, -v15
	v_sub_f16_e32 v30, v11, v8
	v_sub_f16_e32 v34, v3, v26
	s_delay_alu instid0(VALU_DEP_4) | instskip(SKIP_1) | instid1(VALU_DEP_1)
	v_fmac_f16_e32 v6, v126, v7
	v_mul_f16_e64 v7, v158, v16
	v_fmac_f16_e32 v7, v127, v13
	s_waitcnt lgkmcnt(0)
	v_lshrrev_b32_e32 v4, 16, v0
	v_mul_f16_e64 v5, v133, v0
	s_delay_alu instid0(VALU_DEP_2) | instskip(NEXT) | instid1(VALU_DEP_2)
	v_mul_f16_e64 v161, v133, v4
	v_fma_f16 v133, v239, v4, -v5
	ds_load_2addr_b32 v[4:5], v178 offset0:98 offset1:233
	v_fmac_f16_e64 v161, v239, v0
	v_lshrrev_b32_e32 v0, 16, v1
	s_delay_alu instid0(VALU_DEP_1) | instskip(NEXT) | instid1(VALU_DEP_1)
	v_mul_f16_e64 v25, v128, v0
	v_fmac_f16_e32 v25, v94, v1
	v_mul_f16_e64 v1, v128, v1
	s_waitcnt lgkmcnt(0)
	v_lshrrev_b32_e32 v13, 16, v4
	v_mul_f16_e64 v14, v188, v4
	s_delay_alu instid0(VALU_DEP_3)
	v_fma_f16 v125, v94, v0, -v1
	ds_load_2addr_b32 v[0:1], v212 offset0:70 offset1:205
	v_mul_f16_e64 v163, v188, v13
	v_fma_f16 v162, v240, v13, -v14
	ds_load_2addr_b32 v[13:14], v174 offset0:12 offset1:147
	v_fmac_f16_e64 v163, v240, v4
	v_lshrrev_b32_e32 v4, 16, v5
	s_delay_alu instid0(VALU_DEP_1) | instskip(NEXT) | instid1(VALU_DEP_1)
	v_mul_f16_e64 v128, v145, v4
	v_fmac_f16_e64 v128, v95, v5
	v_mul_f16_e64 v5, v145, v5
	s_waitcnt lgkmcnt(0)
	v_lshrrev_b32_e32 v15, 16, v13
	v_mul_f16_e64 v16, v187, v13
	s_delay_alu instid0(VALU_DEP_3)
	v_fma_f16 v122, v95, v4, -v5
	v_lshrrev_b32_e32 v4, 16, v0
	v_mul_f16_e64 v5, v146, v0
	v_mul_f16_e64 v187, v187, v15
	v_fma_f16 v168, v241, v15, -v16
	ds_load_2addr_b32 v[15:16], v167 offset0:54 offset1:189
	ds_load_2addr_b32 v[94:95], v156 offset0:68 offset1:203
	v_fmac_f16_e64 v187, v241, v13
	v_lshrrev_b32_e32 v13, 16, v14
	s_delay_alu instid0(VALU_DEP_1) | instskip(NEXT) | instid1(VALU_DEP_1)
	v_mul_f16_e64 v126, v147, v13
	v_fmac_f16_e32 v126, v96, v14
	v_mul_f16_e64 v14, v147, v14
	s_waitcnt lgkmcnt(1)
	v_lshrrev_b32_e32 v17, 16, v15
	v_mul_f16_e64 v18, v152, v15
	s_delay_alu instid0(VALU_DEP_3)
	v_fma_f16 v121, v96, v13, -v14
	s_waitcnt lgkmcnt(0)
	v_mul_f16_e64 v22, v142, v94
	v_lshrrev_b32_e32 v28, 16, v95
	v_mul_f16_e64 v188, v152, v17
	v_fma_f16 v169, v242, v17, -v18
	v_mul_f16_e64 v17, v154, v16
	v_mul_f16_e32 v29, v113, v95
	s_delay_alu instid0(VALU_DEP_4) | instskip(SKIP_1) | instid1(VALU_DEP_1)
	v_fmac_f16_e64 v188, v242, v15
	v_lshrrev_b32_e32 v15, 16, v16
	v_mul_f16_e64 v108, v154, v15
	v_fma_f16 v123, v97, v15, -v17
	v_mul_f16_e64 v17, v146, v4
	s_delay_alu instid0(VALU_DEP_3)
	v_fmac_f16_e32 v108, v97, v16
	v_fma_f16 v16, v109, v4, -v5
	ds_load_2addr_b32 v[4:5], v189 offset0:112 offset1:247
	v_fmac_f16_e32 v17, v109, v0
	v_lshrrev_b32_e32 v0, 16, v1
	s_waitcnt lgkmcnt(0)
	v_lshrrev_b32_e32 v13, 16, v4
	v_mul_f16_e64 v14, v132, v4
	v_mul_f16_e32 v24, v117, v5
	s_delay_alu instid0(VALU_DEP_3) | instskip(NEXT) | instid1(VALU_DEP_3)
	v_mul_f16_e64 v19, v132, v13
	v_fma_f16 v18, v110, v13, -v14
	ds_load_2addr_b32 v[13:14], v179 offset0:26 offset1:161
	v_fmac_f16_e32 v19, v110, v4
	v_fma_f16 v110, v204, v28, -v29
	s_waitcnt lgkmcnt(0)
	v_lshrrev_b32_e32 v15, 16, v13
	v_mul_f16_e64 v20, v140, v13
	v_lshrrev_b32_e32 v27, 16, v14
	s_delay_alu instid0(VALU_DEP_3) | instskip(NEXT) | instid1(VALU_DEP_3)
	v_mul_f16_e64 v21, v140, v15
	v_fma_f16 v20, v111, v15, -v20
	v_lshrrev_b32_e32 v15, 16, v94
	s_delay_alu instid0(VALU_DEP_4) | instskip(NEXT) | instid1(VALU_DEP_4)
	v_mul_f16_e64 v4, v131, v27
	v_fmac_f16_e32 v21, v111, v13
	v_lshrrev_b32_e32 v13, 16, v5
	s_delay_alu instid0(VALU_DEP_4)
	v_mul_f16_e64 v23, v142, v15
	v_fma_f16 v22, v112, v15, -v22
	v_mul_f16_e32 v15, v114, v0
	v_fmac_f16_e64 v4, v203, v14
	v_mul_f16_e32 v109, v117, v13
	v_fmac_f16_e32 v23, v112, v94
	v_fma_f16 v13, v202, v13, -v24
	v_fmac_f16_e64 v15, v201, v1
	v_mul_f16_e32 v1, v114, v1
	v_fmac_f16_e64 v109, v202, v5
	v_mul_f16_e64 v14, v131, v14
	v_mul_f16_e32 v5, v113, v28
	s_delay_alu instid0(VALU_DEP_4) | instskip(SKIP_4) | instid1(VALU_DEP_3)
	v_fma_f16 v111, v201, v0, -v1
	v_sub_f16_e32 v0, v3, v2
	v_sub_f16_e32 v1, v26, v107
	v_fma_f16 v14, v203, v27, -v14
	v_fmac_f16_e64 v5, v204, v95
	v_add_f16_e32 v112, v0, v1
	v_sub_f16_e32 v0, v11, v10
	v_sub_f16_e32 v1, v8, v9
	s_delay_alu instid0(VALU_DEP_1)
	v_add_f16_e32 v24, v0, v1
	ds_load_2addr_b32 v[0:1], v175 offset1:135
	ds_load_2addr_b32 v[94:95], v184 offset0:14 offset1:149
	ds_load_2addr_b32 v[96:97], v153 offset0:28 offset1:163
	s_waitcnt lgkmcnt(0)
	s_barrier
	buffer_gl0_inv
	v_lshrrev_b32_e32 v28, 16, v0
	v_add_f16_e32 v27, v0, v3
	s_delay_alu instid0(VALU_DEP_2) | instskip(NEXT) | instid1(VALU_DEP_2)
	v_add_f16_e32 v29, v28, v11
	v_add_f16_e32 v27, v27, v2
	v_fma_f16 v33, -0.5, v33, v28
	s_delay_alu instid0(VALU_DEP_3) | instskip(NEXT) | instid1(VALU_DEP_3)
	v_add_f16_e32 v29, v29, v10
	v_add_f16_e32 v27, v27, v107
	s_delay_alu instid0(VALU_DEP_3)
	v_fmamk_f16 v35, v34, 0x3b9c, v33
	v_sub_f16_e32 v10, v10, v11
	v_fmac_f16_e32 v33, 0xbb9c, v34
	v_add_f16_e32 v29, v29, v9
	v_add_f16_e32 v27, v27, v26
	v_fmac_f16_e32 v35, 0x38b4, v36
	s_delay_alu instid0(VALU_DEP_4) | instskip(NEXT) | instid1(VALU_DEP_4)
	v_fmac_f16_e32 v33, 0xb8b4, v36
	v_add_f16_e32 v29, v29, v8
	s_delay_alu instid0(VALU_DEP_3) | instskip(NEXT) | instid1(VALU_DEP_3)
	v_fmac_f16_e32 v35, 0x34f2, v24
	v_fmac_f16_e32 v33, 0x34f2, v24
	s_delay_alu instid0(VALU_DEP_3) | instskip(SKIP_4) | instid1(VALU_DEP_4)
	v_pack_b32_f16 v27, v27, v29
	v_add_f16_e32 v29, v2, v107
	v_sub_f16_e32 v2, v2, v3
	v_add_f16_e32 v3, v3, v26
	v_sub_f16_e32 v24, v115, v116
	v_fma_f16 v29, -0.5, v29, v0
	s_delay_alu instid0(VALU_DEP_3) | instskip(NEXT) | instid1(VALU_DEP_2)
	v_fma_f16 v0, -0.5, v3, v0
	v_fmamk_f16 v31, v30, 0xbb9c, v29
	v_fmac_f16_e32 v29, 0x3b9c, v30
	s_delay_alu instid0(VALU_DEP_3) | instskip(SKIP_1) | instid1(VALU_DEP_4)
	v_fmamk_f16 v3, v32, 0x3b9c, v0
	v_fmac_f16_e32 v0, 0xbb9c, v32
	v_fmac_f16_e32 v31, 0xb8b4, v32
	s_delay_alu instid0(VALU_DEP_4) | instskip(NEXT) | instid1(VALU_DEP_4)
	v_fmac_f16_e32 v29, 0x38b4, v32
	v_fmac_f16_e32 v3, 0xb8b4, v30
	s_delay_alu instid0(VALU_DEP_4) | instskip(NEXT) | instid1(VALU_DEP_4)
	v_fmac_f16_e32 v0, 0x38b4, v30
	v_fmac_f16_e32 v31, 0x34f2, v112
	s_delay_alu instid0(VALU_DEP_4) | instskip(NEXT) | instid1(VALU_DEP_2)
	v_fmac_f16_e32 v29, 0x34f2, v112
	v_pack_b32_f16 v31, v31, v35
	ds_store_2addr_b32 v190, v27, v31 offset1:10
	v_sub_f16_e32 v27, v107, v26
	v_add_f16_e32 v26, v11, v8
	v_sub_f16_e32 v8, v9, v8
	s_delay_alu instid0(VALU_DEP_3) | instskip(NEXT) | instid1(VALU_DEP_3)
	v_add_f16_e32 v2, v2, v27
	v_fmac_f16_e32 v28, -0.5, v26
	v_add_f16_e32 v26, v115, v116
	v_sub_f16_e64 v27, v196, v7
	s_delay_alu instid0(VALU_DEP_4)
	v_fmac_f16_e32 v3, 0x34f2, v2
	v_fmac_f16_e32 v0, 0x34f2, v2
	v_add_f16_e32 v2, v10, v8
	v_fmamk_f16 v8, v36, 0xbb9c, v28
	v_fmac_f16_e32 v28, 0x3b9c, v36
	v_sub_f16_e32 v10, v12, v120
	s_delay_alu instid0(VALU_DEP_3) | instskip(NEXT) | instid1(VALU_DEP_3)
	v_fmac_f16_e32 v8, 0x38b4, v34
	v_fmac_f16_e32 v28, 0xb8b4, v34
	s_delay_alu instid0(VALU_DEP_2) | instskip(NEXT) | instid1(VALU_DEP_2)
	v_fmac_f16_e32 v8, 0x34f2, v2
	v_fmac_f16_e32 v28, 0x34f2, v2
	s_delay_alu instid0(VALU_DEP_2) | instskip(NEXT) | instid1(VALU_DEP_2)
	v_pack_b32_f16 v2, v3, v8
	v_pack_b32_f16 v0, v0, v28
	v_sub_f16_e32 v3, v120, v116
	v_lshrrev_b32_e32 v8, 16, v1
	ds_store_2addr_b32 v190, v2, v0 offset0:20 offset1:30
	v_pack_b32_f16 v0, v29, v33
	v_sub_f16_e32 v2, v7, v6
	v_add_f16_e32 v9, v8, v12
	v_fma_f16 v26, -0.5, v26, v8
	v_sub_f16_e64 v29, v197, v6
	ds_store_b32 v190, v0 offset:160
	v_sub_f16_e64 v0, v196, v197
	v_add_f16_e32 v9, v9, v115
	v_fmamk_f16 v28, v27, 0x3b9c, v26
	v_fmac_f16_e32 v26, 0xbb9c, v27
	s_delay_alu instid0(VALU_DEP_4) | instskip(SKIP_4) | instid1(VALU_DEP_4)
	v_add_f16_e32 v0, v0, v2
	v_sub_f16_e32 v2, v12, v115
	v_add_f16_e32 v9, v9, v116
	v_fmac_f16_e32 v28, 0x38b4, v29
	v_fmac_f16_e32 v26, 0xb8b4, v29
	v_add_f16_e32 v2, v2, v3
	v_add_f16_e64 v3, v1, v196
	v_add_f16_e32 v9, v9, v120
	s_delay_alu instid0(VALU_DEP_3) | instskip(NEXT) | instid1(VALU_DEP_3)
	v_fmac_f16_e32 v28, 0x34f2, v2
	v_add_f16_e64 v3, v3, v197
	v_fmac_f16_e32 v26, 0x34f2, v2
	v_sub_f16_e64 v2, v169, v168
	s_delay_alu instid0(VALU_DEP_3) | instskip(NEXT) | instid1(VALU_DEP_1)
	v_add_f16_e32 v3, v3, v6
	v_add_f16_e32 v3, v3, v7
	s_delay_alu instid0(VALU_DEP_1) | instskip(SKIP_2) | instid1(VALU_DEP_2)
	v_pack_b32_f16 v3, v3, v9
	v_add_f16_e64 v9, v197, v6
	v_sub_f16_e32 v6, v6, v7
	v_fma_f16 v9, -0.5, v9, v1
	s_delay_alu instid0(VALU_DEP_1) | instskip(SKIP_1) | instid1(VALU_DEP_2)
	v_fmamk_f16 v11, v10, 0xbb9c, v9
	v_fmac_f16_e32 v9, 0x3b9c, v10
	v_fmac_f16_e32 v11, 0xb8b4, v24
	s_delay_alu instid0(VALU_DEP_2) | instskip(NEXT) | instid1(VALU_DEP_2)
	v_fmac_f16_e32 v9, 0x38b4, v24
	v_fmac_f16_e32 v11, 0x34f2, v0
	s_delay_alu instid0(VALU_DEP_2) | instskip(NEXT) | instid1(VALU_DEP_2)
	v_fmac_f16_e32 v9, 0x34f2, v0
	v_pack_b32_f16 v11, v11, v28
	v_sub_f16_e32 v28, v116, v120
	s_delay_alu instid0(VALU_DEP_3)
	v_pack_b32_f16 v0, v9, v26
	v_sub_f16_e64 v9, v162, v168
	v_sub_f16_e64 v26, v168, v169
	ds_store_2addr_b32 v219, v3, v11 offset1:10
	v_add_f16_e64 v11, v196, v7
	v_sub_f16_e32 v7, v115, v12
	v_add_f16_e32 v12, v12, v120
	v_sub_f16_e64 v3, v197, v196
	ds_store_b32 v219, v0 offset:160
	v_fmac_f16_e32 v1, -0.5, v11
	v_sub_f16_e64 v0, v161, v163
	v_fmac_f16_e32 v8, -0.5, v12
	v_add_f16_e32 v3, v3, v6
	v_add_f16_e32 v6, v7, v28
	v_fmamk_f16 v7, v24, 0x3b9c, v1
	v_fmac_f16_e32 v1, 0xbb9c, v24
	v_fmamk_f16 v11, v29, 0xbb9c, v8
	v_fmac_f16_e32 v8, 0x3b9c, v29
	v_sub_f16_e64 v24, v163, v187
	v_fmac_f16_e32 v7, 0xb8b4, v10
	v_fmac_f16_e32 v1, 0x38b4, v10
	;; [unrolled: 1-line block ×4, first 2 shown]
	v_add_f16_e64 v10, v162, v168
	v_fmac_f16_e32 v7, 0x34f2, v3
	v_fmac_f16_e32 v1, 0x34f2, v3
	;; [unrolled: 1-line block ×4, first 2 shown]
	s_delay_alu instid0(VALU_DEP_2) | instskip(NEXT) | instid1(VALU_DEP_2)
	v_pack_b32_f16 v3, v7, v11
	v_pack_b32_f16 v1, v1, v8
	v_sub_f16_e64 v7, v133, v169
	v_sub_f16_e64 v11, v161, v188
	ds_store_2addr_b32 v219, v3, v1 offset0:20 offset1:30
	v_sub_f16_e64 v1, v188, v187
	v_lshrrev_b32_e32 v3, 16, v94
	s_delay_alu instid0(VALU_DEP_2) | instskip(SKIP_1) | instid1(VALU_DEP_3)
	v_add_f16_e32 v0, v0, v1
	v_sub_f16_e64 v1, v133, v162
	v_add_f16_e64 v6, v3, v133
	v_fma_f16 v10, -0.5, v10, v3
	s_delay_alu instid0(VALU_DEP_3) | instskip(SKIP_1) | instid1(VALU_DEP_4)
	v_add_f16_e32 v1, v1, v2
	v_add_f16_e64 v2, v94, v161
	v_add_f16_e64 v6, v6, v162
	s_delay_alu instid0(VALU_DEP_4) | instskip(SKIP_1) | instid1(VALU_DEP_4)
	v_fmamk_f16 v12, v11, 0x3b9c, v10
	v_fmac_f16_e32 v10, 0xbb9c, v11
	v_add_f16_e64 v2, v2, v163
	s_delay_alu instid0(VALU_DEP_4) | instskip(NEXT) | instid1(VALU_DEP_4)
	v_add_f16_e64 v6, v6, v168
	v_fmac_f16_e32 v12, 0x38b4, v24
	s_delay_alu instid0(VALU_DEP_4) | instskip(NEXT) | instid1(VALU_DEP_4)
	v_fmac_f16_e32 v10, 0xb8b4, v24
	v_add_f16_e64 v2, v2, v187
	s_delay_alu instid0(VALU_DEP_4) | instskip(NEXT) | instid1(VALU_DEP_4)
	v_add_f16_e64 v6, v6, v169
	v_fmac_f16_e32 v12, 0x34f2, v1
	s_delay_alu instid0(VALU_DEP_4) | instskip(SKIP_2) | instid1(VALU_DEP_1)
	v_fmac_f16_e32 v10, 0x34f2, v1
	v_sub_f16_e32 v1, v108, v126
	v_add_f16_e64 v2, v2, v188
	v_pack_b32_f16 v2, v2, v6
	v_add_f16_e64 v6, v163, v187
	s_delay_alu instid0(VALU_DEP_1) | instskip(NEXT) | instid1(VALU_DEP_1)
	v_fma_f16 v6, -0.5, v6, v94
	v_fmamk_f16 v8, v7, 0xbb9c, v6
	v_fmac_f16_e32 v6, 0x3b9c, v7
	s_delay_alu instid0(VALU_DEP_2) | instskip(NEXT) | instid1(VALU_DEP_2)
	v_fmac_f16_e32 v8, 0xb8b4, v9
	v_fmac_f16_e32 v6, 0x38b4, v9
	s_delay_alu instid0(VALU_DEP_2) | instskip(NEXT) | instid1(VALU_DEP_2)
	v_fmac_f16_e32 v8, 0x34f2, v0
	v_fmac_f16_e32 v6, 0x34f2, v0
	s_delay_alu instid0(VALU_DEP_2) | instskip(SKIP_1) | instid1(VALU_DEP_3)
	v_pack_b32_f16 v8, v8, v12
	v_add_f16_e64 v12, v161, v188
	v_pack_b32_f16 v0, v6, v10
	v_add_f16_e32 v10, v122, v121
	ds_store_2addr_b32 v222, v2, v8 offset1:10
	v_sub_f16_e64 v2, v163, v161
	v_sub_f16_e64 v8, v187, v188
	v_fma_f16 v12, -0.5, v12, v94
	ds_store_b32 v222, v0 offset:160
	v_sub_f16_e64 v0, v25, v128
	v_add_f16_e32 v2, v2, v8
	v_add_f16_e64 v8, v133, v169
	v_fmamk_f16 v27, v9, 0x3b9c, v12
	v_fmac_f16_e32 v12, 0xbb9c, v9
	v_add_f16_e32 v0, v0, v1
	v_sub_f16_e32 v1, v125, v122
	v_fmac_f16_e32 v3, -0.5, v8
	v_sub_f16_e64 v8, v162, v133
	v_fmac_f16_e32 v27, 0xb8b4, v7
	v_fmac_f16_e32 v12, 0x38b4, v7
	v_sub_f16_e32 v7, v125, v123
	v_sub_f16_e32 v9, v122, v121
	s_delay_alu instid0(VALU_DEP_4) | instskip(NEXT) | instid1(VALU_DEP_4)
	v_fmac_f16_e32 v27, 0x34f2, v2
	v_fmac_f16_e32 v12, 0x34f2, v2
	v_add_f16_e32 v2, v8, v26
	v_fmamk_f16 v8, v24, 0xbb9c, v3
	v_fmac_f16_e32 v3, 0x3b9c, v24
	v_sub_f16_e64 v24, v128, v126
	v_add_f16_e32 v26, v125, v123
	s_delay_alu instid0(VALU_DEP_4) | instskip(NEXT) | instid1(VALU_DEP_4)
	v_fmac_f16_e32 v8, 0x38b4, v11
	v_fmac_f16_e32 v3, 0xb8b4, v11
	v_sub_f16_e32 v11, v25, v108
	s_delay_alu instid0(VALU_DEP_3) | instskip(NEXT) | instid1(VALU_DEP_3)
	v_fmac_f16_e32 v8, 0x34f2, v2
	v_fmac_f16_e32 v3, 0x34f2, v2
	s_delay_alu instid0(VALU_DEP_2) | instskip(NEXT) | instid1(VALU_DEP_2)
	v_pack_b32_f16 v2, v27, v8
	v_pack_b32_f16 v3, v12, v3
	v_sub_f16_e32 v27, v121, v123
	ds_store_2addr_b32 v222, v2, v3 offset0:20 offset1:30
	v_sub_f16_e32 v2, v123, v121
	v_lshrrev_b32_e32 v3, 16, v95
	s_delay_alu instid0(VALU_DEP_2) | instskip(SKIP_1) | instid1(VALU_DEP_3)
	v_add_f16_e32 v1, v1, v2
	v_add_f16_e32 v2, v95, v25
	;; [unrolled: 1-line block ×3, first 2 shown]
	v_fma_f16 v10, -0.5, v10, v3
	v_fmac_f16_e32 v3, -0.5, v26
	s_delay_alu instid0(VALU_DEP_4) | instskip(NEXT) | instid1(VALU_DEP_4)
	v_add_f16_e64 v2, v2, v128
	v_add_f16_e32 v6, v6, v122
	s_delay_alu instid0(VALU_DEP_4) | instskip(SKIP_1) | instid1(VALU_DEP_4)
	v_fmamk_f16 v12, v11, 0x3b9c, v10
	v_fmac_f16_e32 v10, 0xbb9c, v11
	v_add_f16_e32 v2, v2, v126
	s_delay_alu instid0(VALU_DEP_4) | instskip(NEXT) | instid1(VALU_DEP_4)
	v_add_f16_e32 v6, v6, v121
	v_fmac_f16_e32 v12, 0x38b4, v24
	s_delay_alu instid0(VALU_DEP_4) | instskip(NEXT) | instid1(VALU_DEP_4)
	v_fmac_f16_e32 v10, 0xb8b4, v24
	v_add_f16_e32 v2, v2, v108
	s_delay_alu instid0(VALU_DEP_4) | instskip(NEXT) | instid1(VALU_DEP_4)
	v_add_f16_e32 v6, v6, v123
	v_fmac_f16_e32 v12, 0x34f2, v1
	s_delay_alu instid0(VALU_DEP_4) | instskip(SKIP_1) | instid1(VALU_DEP_4)
	v_fmac_f16_e32 v10, 0x34f2, v1
	v_sub_f16_e32 v1, v23, v21
	v_pack_b32_f16 v2, v2, v6
	v_add_f16_e64 v6, v128, v126
	s_delay_alu instid0(VALU_DEP_1) | instskip(NEXT) | instid1(VALU_DEP_1)
	v_fma_f16 v6, -0.5, v6, v95
	v_fmamk_f16 v8, v7, 0xbb9c, v6
	v_fmac_f16_e32 v6, 0x3b9c, v7
	s_delay_alu instid0(VALU_DEP_2) | instskip(NEXT) | instid1(VALU_DEP_2)
	v_fmac_f16_e32 v8, 0xb8b4, v9
	v_fmac_f16_e32 v6, 0x38b4, v9
	s_delay_alu instid0(VALU_DEP_2) | instskip(NEXT) | instid1(VALU_DEP_2)
	v_fmac_f16_e32 v8, 0x34f2, v0
	v_fmac_f16_e32 v6, 0x34f2, v0
	s_delay_alu instid0(VALU_DEP_2) | instskip(SKIP_1) | instid1(VALU_DEP_3)
	v_pack_b32_f16 v8, v8, v12
	v_sub_f16_e32 v12, v126, v108
	v_pack_b32_f16 v0, v6, v10
	v_add_f16_e32 v10, v18, v20
	ds_store_2addr_b32 v224, v2, v8 offset1:10
	v_add_f16_e32 v8, v25, v108
	v_sub_f16_e64 v2, v128, v25
	v_sub_f16_e32 v25, v122, v125
	ds_store_b32 v224, v0 offset:160
	v_sub_f16_e32 v0, v17, v19
	v_fmac_f16_e32 v95, -0.5, v8
	v_add_f16_e32 v2, v2, v12
	v_add_f16_e32 v8, v25, v27
	v_fmamk_f16 v25, v24, 0xbb9c, v3
	v_fmac_f16_e32 v3, 0x3b9c, v24
	v_fmamk_f16 v12, v9, 0x3b9c, v95
	v_fmac_f16_e32 v95, 0xbb9c, v9
	v_add_f16_e32 v0, v0, v1
	v_fmac_f16_e32 v25, 0x38b4, v11
	v_fmac_f16_e32 v3, 0xb8b4, v11
	;; [unrolled: 1-line block ×4, first 2 shown]
	v_sub_f16_e32 v1, v16, v18
	v_fmac_f16_e32 v25, 0x34f2, v8
	v_fmac_f16_e32 v3, 0x34f2, v8
	;; [unrolled: 1-line block ×4, first 2 shown]
	v_sub_f16_e32 v7, v16, v22
	v_sub_f16_e32 v11, v17, v23
	;; [unrolled: 1-line block ×3, first 2 shown]
	v_pack_b32_f16 v2, v12, v25
	v_pack_b32_f16 v3, v95, v3
	v_sub_f16_e32 v24, v19, v21
	ds_store_2addr_b32 v224, v2, v3 offset0:20 offset1:30
	v_sub_f16_e32 v2, v22, v20
	v_lshrrev_b32_e32 v3, 16, v96
	s_delay_alu instid0(VALU_DEP_2) | instskip(SKIP_1) | instid1(VALU_DEP_3)
	v_add_f16_e32 v1, v1, v2
	v_add_f16_e32 v2, v96, v17
	;; [unrolled: 1-line block ×3, first 2 shown]
	v_fma_f16 v10, -0.5, v10, v3
	s_delay_alu instid0(VALU_DEP_3) | instskip(NEXT) | instid1(VALU_DEP_3)
	v_add_f16_e32 v2, v2, v19
	v_add_f16_e32 v6, v6, v18
	s_delay_alu instid0(VALU_DEP_3) | instskip(SKIP_1) | instid1(VALU_DEP_4)
	v_fmamk_f16 v12, v11, 0x3b9c, v10
	v_fmac_f16_e32 v10, 0xbb9c, v11
	v_add_f16_e32 v2, v2, v21
	s_delay_alu instid0(VALU_DEP_4) | instskip(NEXT) | instid1(VALU_DEP_4)
	v_add_f16_e32 v6, v6, v20
	v_fmac_f16_e32 v12, 0x38b4, v24
	s_delay_alu instid0(VALU_DEP_4) | instskip(NEXT) | instid1(VALU_DEP_4)
	v_fmac_f16_e32 v10, 0xb8b4, v24
	v_add_f16_e32 v2, v2, v23
	s_delay_alu instid0(VALU_DEP_4) | instskip(NEXT) | instid1(VALU_DEP_4)
	v_add_f16_e32 v6, v6, v22
	v_fmac_f16_e32 v12, 0x34f2, v1
	s_delay_alu instid0(VALU_DEP_4) | instskip(SKIP_1) | instid1(VALU_DEP_4)
	v_fmac_f16_e32 v10, 0x34f2, v1
	v_sub_f16_e32 v1, v5, v4
	v_pack_b32_f16 v2, v2, v6
	v_add_f16_e32 v6, v19, v21
	s_delay_alu instid0(VALU_DEP_1) | instskip(NEXT) | instid1(VALU_DEP_1)
	v_fma_f16 v6, -0.5, v6, v96
	v_fmamk_f16 v8, v7, 0xbb9c, v6
	v_fmac_f16_e32 v6, 0x3b9c, v7
	s_delay_alu instid0(VALU_DEP_2) | instskip(NEXT) | instid1(VALU_DEP_2)
	v_fmac_f16_e32 v8, 0xb8b4, v9
	v_fmac_f16_e32 v6, 0x38b4, v9
	s_delay_alu instid0(VALU_DEP_2) | instskip(NEXT) | instid1(VALU_DEP_2)
	v_fmac_f16_e32 v8, 0x34f2, v0
	v_fmac_f16_e32 v6, 0x34f2, v0
	s_delay_alu instid0(VALU_DEP_2) | instskip(SKIP_1) | instid1(VALU_DEP_3)
	v_pack_b32_f16 v8, v8, v12
	v_add_f16_e32 v12, v17, v23
	v_pack_b32_f16 v0, v6, v10
	v_add_f16_e32 v10, v13, v14
	ds_store_2addr_b32 v227, v2, v8 offset1:10
	v_sub_f16_e32 v2, v19, v17
	v_sub_f16_e32 v8, v21, v23
	v_fma_f16 v12, -0.5, v12, v96
	ds_store_b32 v227, v0 offset:160
	v_sub_f16_e32 v0, v15, v109
	v_add_f16_e32 v2, v2, v8
	v_add_f16_e32 v8, v16, v22
	v_fmamk_f16 v17, v9, 0x3b9c, v12
	v_fmac_f16_e32 v12, 0xbb9c, v9
	v_add_f16_e32 v0, v0, v1
	v_sub_f16_e32 v1, v111, v13
	v_fmac_f16_e32 v3, -0.5, v8
	v_sub_f16_e32 v8, v18, v16
	v_sub_f16_e32 v16, v20, v22
	v_fmac_f16_e32 v17, 0xb8b4, v7
	v_fmac_f16_e32 v12, 0x38b4, v7
	v_sub_f16_e32 v7, v111, v110
	v_sub_f16_e32 v9, v13, v14
	s_delay_alu instid0(VALU_DEP_4) | instskip(NEXT) | instid1(VALU_DEP_4)
	v_fmac_f16_e32 v17, 0x34f2, v2
	v_fmac_f16_e32 v12, 0x34f2, v2
	v_add_f16_e32 v2, v8, v16
	v_fmamk_f16 v8, v24, 0xbb9c, v3
	v_fmac_f16_e32 v3, 0x3b9c, v24
	v_sub_f16_e32 v16, v109, v4
	v_lshrrev_b32_e32 v24, 16, v60
	s_delay_alu instid0(VALU_DEP_4) | instskip(NEXT) | instid1(VALU_DEP_4)
	v_fmac_f16_e32 v8, 0x38b4, v11
	v_fmac_f16_e32 v3, 0xb8b4, v11
	v_sub_f16_e32 v11, v15, v5
	s_delay_alu instid0(VALU_DEP_3) | instskip(NEXT) | instid1(VALU_DEP_3)
	v_fmac_f16_e32 v8, 0x34f2, v2
	v_fmac_f16_e32 v3, 0x34f2, v2
	s_delay_alu instid0(VALU_DEP_2) | instskip(NEXT) | instid1(VALU_DEP_2)
	v_pack_b32_f16 v2, v17, v8
	v_pack_b32_f16 v3, v12, v3
	ds_store_2addr_b32 v227, v2, v3 offset0:20 offset1:30
	v_sub_f16_e32 v2, v110, v14
	v_lshrrev_b32_e32 v3, 16, v97
	s_delay_alu instid0(VALU_DEP_2) | instskip(SKIP_1) | instid1(VALU_DEP_3)
	v_add_f16_e32 v1, v1, v2
	v_add_f16_e32 v2, v97, v15
	v_add_f16_e32 v6, v3, v111
	v_fma_f16 v10, -0.5, v10, v3
	s_delay_alu instid0(VALU_DEP_3) | instskip(NEXT) | instid1(VALU_DEP_3)
	v_add_f16_e32 v2, v2, v109
	v_add_f16_e32 v6, v6, v13
	s_delay_alu instid0(VALU_DEP_3) | instskip(SKIP_1) | instid1(VALU_DEP_4)
	v_fmamk_f16 v12, v11, 0x3b9c, v10
	v_fmac_f16_e32 v10, 0xbb9c, v11
	v_add_f16_e32 v2, v2, v4
	s_delay_alu instid0(VALU_DEP_4) | instskip(NEXT) | instid1(VALU_DEP_4)
	v_add_f16_e32 v6, v6, v14
	v_fmac_f16_e32 v12, 0x38b4, v16
	s_delay_alu instid0(VALU_DEP_4) | instskip(NEXT) | instid1(VALU_DEP_4)
	v_fmac_f16_e32 v10, 0xb8b4, v16
	v_add_f16_e32 v2, v2, v5
	s_delay_alu instid0(VALU_DEP_4) | instskip(NEXT) | instid1(VALU_DEP_4)
	v_add_f16_e32 v6, v6, v110
	v_fmac_f16_e32 v12, 0x34f2, v1
	s_delay_alu instid0(VALU_DEP_4) | instskip(NEXT) | instid1(VALU_DEP_3)
	v_fmac_f16_e32 v10, 0x34f2, v1
	v_pack_b32_f16 v2, v2, v6
	v_add_f16_e32 v6, v109, v4
	v_sub_f16_e32 v4, v4, v5
	s_delay_alu instid0(VALU_DEP_2) | instskip(NEXT) | instid1(VALU_DEP_1)
	v_fma_f16 v6, -0.5, v6, v97
	v_fmamk_f16 v8, v7, 0xbb9c, v6
	v_fmac_f16_e32 v6, 0x3b9c, v7
	s_delay_alu instid0(VALU_DEP_2) | instskip(NEXT) | instid1(VALU_DEP_2)
	v_fmac_f16_e32 v8, 0xb8b4, v9
	v_fmac_f16_e32 v6, 0x38b4, v9
	s_delay_alu instid0(VALU_DEP_2) | instskip(NEXT) | instid1(VALU_DEP_2)
	v_fmac_f16_e32 v8, 0x34f2, v0
	v_fmac_f16_e32 v6, 0x34f2, v0
	s_delay_alu instid0(VALU_DEP_2) | instskip(SKIP_1) | instid1(VALU_DEP_3)
	v_pack_b32_f16 v8, v8, v12
	v_add_f16_e32 v12, v111, v110
	v_pack_b32_f16 v0, v6, v10
	ds_store_2addr_b32 v233, v2, v8 offset1:10
	v_add_f16_e32 v8, v15, v5
	v_sub_f16_e32 v2, v109, v15
	v_sub_f16_e32 v5, v13, v111
	;; [unrolled: 1-line block ×3, first 2 shown]
	v_fmac_f16_e32 v3, -0.5, v12
	v_fmac_f16_e32 v97, -0.5, v8
	v_add_f16_e32 v2, v2, v4
	ds_store_b32 v233, v0 offset:160
	v_add_f16_e32 v4, v5, v13
	v_fmamk_f16 v8, v16, 0xbb9c, v3
	v_fmamk_f16 v5, v9, 0x3b9c, v97
	v_fmac_f16_e32 v97, 0xbb9c, v9
	v_fmac_f16_e32 v3, 0x3b9c, v16
	v_lshrrev_b32_e32 v16, 16, v54
	v_fmac_f16_e32 v8, 0x38b4, v11
	v_fmac_f16_e32 v5, 0xb8b4, v7
	;; [unrolled: 1-line block ×4, first 2 shown]
	s_delay_alu instid0(VALU_DEP_4) | instskip(NEXT) | instid1(VALU_DEP_4)
	v_fmac_f16_e32 v8, 0x34f2, v4
	v_fmac_f16_e32 v5, 0x34f2, v2
	s_delay_alu instid0(VALU_DEP_4) | instskip(NEXT) | instid1(VALU_DEP_4)
	v_fmac_f16_e32 v97, 0x34f2, v2
	v_fmac_f16_e32 v3, 0x34f2, v4
	v_lshrrev_b32_e32 v4, 16, v63
	s_delay_alu instid0(VALU_DEP_4) | instskip(SKIP_1) | instid1(VALU_DEP_4)
	v_pack_b32_f16 v2, v5, v8
	v_lshrrev_b32_e32 v8, 16, v64
	v_pack_b32_f16 v3, v97, v3
	ds_store_2addr_b32 v233, v2, v3 offset0:20 offset1:30
	s_waitcnt lgkmcnt(0)
	s_barrier
	buffer_gl0_inv
	ds_load_2addr_b32 v[0:1], v212 offset0:70 offset1:205
	s_waitcnt lgkmcnt(0)
	v_lshrrev_b32_e32 v2, 16, v0
	v_mul_f16_e32 v3, v4, v0
	s_delay_alu instid0(VALU_DEP_2) | instskip(NEXT) | instid1(VALU_DEP_2)
	v_mul_f16_e32 v4, v4, v2
	v_fma_f16 v5, v63, v2, -v3
	ds_load_2addr_b32 v[2:3], v174 offset0:12 offset1:147
	v_fmac_f16_e32 v4, v63, v0
	v_lshrrev_b32_e32 v0, 16, v1
	s_waitcnt lgkmcnt(0)
	v_lshrrev_b32_e32 v6, 16, v2
	v_mul_f16_e32 v7, v8, v2
	s_delay_alu instid0(VALU_DEP_2) | instskip(NEXT) | instid1(VALU_DEP_2)
	v_mul_f16_e32 v8, v8, v6
	v_fma_f16 v6, v64, v6, -v7
	v_lshrrev_b32_e32 v7, 16, v58
	s_delay_alu instid0(VALU_DEP_3) | instskip(SKIP_1) | instid1(VALU_DEP_4)
	v_fmac_f16_e32 v8, v64, v2
	v_lshrrev_b32_e32 v2, 16, v57
	v_sub_f16_e32 v47, v5, v6
	s_delay_alu instid0(VALU_DEP_3) | instskip(NEXT) | instid1(VALU_DEP_3)
	v_sub_f16_e32 v48, v4, v8
	v_mul_f16_e32 v10, v2, v0
	s_delay_alu instid0(VALU_DEP_1) | instskip(SKIP_2) | instid1(VALU_DEP_2)
	v_fmac_f16_e32 v10, v57, v1
	v_mul_f16_e32 v1, v2, v1
	v_lshrrev_b32_e32 v2, 16, v3
	v_fma_f16 v12, v57, v0, -v1
	ds_load_2addr_b32 v[0:1], v180 offset0:84 offset1:219
	v_mul_f16_e32 v11, v7, v2
	v_mul_f16_e32 v7, v7, v3
	s_delay_alu instid0(VALU_DEP_2) | instskip(NEXT) | instid1(VALU_DEP_2)
	v_fmac_f16_e32 v11, v58, v3
	v_fma_f16 v13, v58, v2, -v7
	v_lshrrev_b32_e32 v7, 16, v53
	s_waitcnt lgkmcnt(0)
	v_lshrrev_b32_e32 v2, 16, v0
	s_delay_alu instid0(VALU_DEP_2) | instskip(NEXT) | instid1(VALU_DEP_2)
	v_mul_f16_e32 v3, v7, v0
	v_mul_f16_e32 v14, v7, v2
	s_delay_alu instid0(VALU_DEP_2)
	v_fma_f16 v15, v53, v2, -v3
	ds_load_2addr_b32 v[2:3], v179 offset0:26 offset1:161
	v_fmac_f16_e32 v14, v53, v0
	v_lshrrev_b32_e32 v0, 16, v1
	s_waitcnt lgkmcnt(0)
	v_lshrrev_b32_e32 v7, 16, v2
	v_mul_f16_e32 v9, v16, v2
	s_delay_alu instid0(VALU_DEP_2) | instskip(NEXT) | instid1(VALU_DEP_2)
	v_mul_f16_e32 v16, v16, v7
	v_fma_f16 v17, v54, v7, -v9
	v_lshrrev_b32_e32 v7, 16, v50
	s_delay_alu instid0(VALU_DEP_3) | instskip(SKIP_1) | instid1(VALU_DEP_1)
	v_fmac_f16_e32 v16, v54, v2
	v_lshrrev_b32_e32 v2, 16, v49
	v_mul_f16_e32 v18, v2, v0
	s_delay_alu instid0(VALU_DEP_1) | instskip(SKIP_2) | instid1(VALU_DEP_2)
	v_fmac_f16_e32 v18, v49, v1
	v_mul_f16_e32 v1, v2, v1
	v_lshrrev_b32_e32 v2, 16, v3
	v_fma_f16 v20, v49, v0, -v1
	ds_load_2addr_b32 v[0:1], v178 offset0:98 offset1:233
	v_mul_f16_e32 v19, v7, v2
	v_mul_f16_e32 v7, v7, v3
	s_delay_alu instid0(VALU_DEP_2) | instskip(NEXT) | instid1(VALU_DEP_2)
	v_fmac_f16_e32 v19, v50, v3
	v_fma_f16 v21, v50, v2, -v7
	v_lshrrev_b32_e32 v7, 16, v59
	s_waitcnt lgkmcnt(0)
	v_lshrrev_b32_e32 v2, 16, v0
	s_delay_alu instid0(VALU_DEP_2) | instskip(NEXT) | instid1(VALU_DEP_2)
	v_mul_f16_e32 v3, v7, v0
	v_mul_f16_e32 v22, v7, v2
	s_delay_alu instid0(VALU_DEP_2) | instskip(SKIP_3) | instid1(VALU_DEP_1)
	v_fma_f16 v23, v59, v2, -v3
	ds_load_2addr_b32 v[2:3], v170 offset0:40 offset1:175
	v_fmac_f16_e32 v22, v59, v0
	v_lshrrev_b32_e32 v0, 16, v1
	v_mul_f16_e64 v26, v253, v0
	s_delay_alu instid0(VALU_DEP_1) | instskip(SKIP_3) | instid1(VALU_DEP_2)
	v_fmac_f16_e32 v26, v67, v1
	v_mul_f16_e64 v1, v253, v1
	s_waitcnt lgkmcnt(0)
	v_lshrrev_b32_e32 v7, 16, v2
	v_fma_f16 v28, v67, v0, -v1
	ds_load_2addr_b32 v[0:1], v189 offset0:112 offset1:247
	v_mul_f16_e32 v9, v24, v2
	v_mul_f16_e32 v24, v24, v7
	s_delay_alu instid0(VALU_DEP_2) | instskip(SKIP_1) | instid1(VALU_DEP_3)
	v_fma_f16 v25, v60, v7, -v9
	v_lshrrev_b32_e32 v7, 16, v68
	v_fmac_f16_e32 v24, v60, v2
	v_lshrrev_b32_e32 v2, 16, v3
	s_delay_alu instid0(VALU_DEP_1) | instskip(SKIP_1) | instid1(VALU_DEP_2)
	v_mul_f16_e32 v27, v7, v2
	v_mul_f16_e32 v7, v7, v3
	v_fmac_f16_e32 v27, v68, v3
	s_delay_alu instid0(VALU_DEP_2) | instskip(SKIP_3) | instid1(VALU_DEP_2)
	v_fma_f16 v29, v68, v2, -v7
	s_waitcnt lgkmcnt(0)
	v_lshrrev_b32_e32 v2, 16, v0
	v_mul_f16_e64 v3, v230, v0
	v_mul_f16_e64 v30, v230, v2
	s_delay_alu instid0(VALU_DEP_2) | instskip(SKIP_3) | instid1(VALU_DEP_1)
	v_fma_f16 v31, v65, v2, -v3
	ds_load_2addr_b32 v[2:3], v167 offset0:54 offset1:189
	v_fmac_f16_e32 v30, v65, v0
	v_lshrrev_b32_e32 v0, 16, v1
	v_mul_f16_e64 v34, v221, v0
	s_delay_alu instid0(VALU_DEP_1) | instskip(SKIP_3) | instid1(VALU_DEP_2)
	v_fmac_f16_e32 v34, v61, v1
	v_mul_f16_e64 v1, v221, v1
	s_waitcnt lgkmcnt(0)
	v_lshrrev_b32_e32 v7, 16, v2
	v_fma_f16 v36, v61, v0, -v1
	ds_load_2addr_b32 v[0:1], v171 offset0:62 offset1:197
	v_mul_f16_e64 v9, v244, v2
	v_mul_f16_e64 v32, v244, v7
	s_delay_alu instid0(VALU_DEP_2) | instskip(SKIP_1) | instid1(VALU_DEP_3)
	v_fma_f16 v33, v66, v7, -v9
	v_mul_f16_e64 v7, v223, v3
	v_fmac_f16_e32 v32, v66, v2
	v_lshrrev_b32_e32 v2, 16, v3
	s_delay_alu instid0(VALU_DEP_1) | instskip(NEXT) | instid1(VALU_DEP_4)
	v_mul_f16_e64 v35, v223, v2
	v_fma_f16 v37, v62, v2, -v7
	v_lshrrev_b32_e32 v7, 16, v55
	s_delay_alu instid0(VALU_DEP_3) | instskip(SKIP_2) | instid1(VALU_DEP_3)
	v_fmac_f16_e32 v35, v62, v3
	s_waitcnt lgkmcnt(0)
	v_lshrrev_b32_e32 v2, 16, v0
	v_mul_f16_e32 v3, v7, v0
	s_delay_alu instid0(VALU_DEP_2) | instskip(NEXT) | instid1(VALU_DEP_2)
	v_mul_f16_e32 v38, v7, v2
	v_fma_f16 v39, v55, v2, -v3
	ds_load_2addr_b32 v[2:3], v156 offset0:68 offset1:203
	v_fmac_f16_e32 v38, v55, v0
	v_lshrrev_b32_e32 v0, 16, v1
	s_delay_alu instid0(VALU_DEP_1) | instskip(NEXT) | instid1(VALU_DEP_1)
	v_mul_f16_e64 v42, v200, v0
	v_fmac_f16_e32 v42, v51, v1
	v_mul_f16_e64 v1, v200, v1
	s_waitcnt lgkmcnt(0)
	v_lshrrev_b32_e32 v7, 16, v2
	s_delay_alu instid0(VALU_DEP_2) | instskip(SKIP_3) | instid1(VALU_DEP_2)
	v_fma_f16 v44, v51, v0, -v1
	ds_load_2addr_b32 v[0:1], v175 offset1:135
	v_mul_f16_e64 v9, v206, v2
	v_mul_f16_e64 v40, v206, v7
	v_fma_f16 v41, v56, v7, -v9
	v_mul_f16_e64 v7, v235, v3
	s_delay_alu instid0(VALU_DEP_3) | instskip(SKIP_1) | instid1(VALU_DEP_1)
	v_fmac_f16_e32 v40, v56, v2
	v_lshrrev_b32_e32 v2, 16, v3
	v_mul_f16_e64 v43, v235, v2
	s_delay_alu instid0(VALU_DEP_4) | instskip(NEXT) | instid1(VALU_DEP_2)
	v_fma_f16 v45, v52, v2, -v7
	v_fmac_f16_e32 v43, v52, v3
	s_waitcnt lgkmcnt(0)
	v_lshrrev_b32_e32 v46, 16, v0
	v_add_f16_e32 v3, v5, v6
	s_delay_alu instid0(VALU_DEP_2) | instskip(NEXT) | instid1(VALU_DEP_2)
	v_add_f16_e32 v2, v46, v5
	v_fmac_f16_e32 v46, -0.5, v3
	v_add_f16_e32 v3, v0, v4
	v_add_f16_e32 v5, v4, v8
	s_delay_alu instid0(VALU_DEP_4) | instskip(NEXT) | instid1(VALU_DEP_3)
	v_add_f16_e32 v2, v2, v6
	v_add_f16_e32 v3, v3, v8
	s_delay_alu instid0(VALU_DEP_3) | instskip(NEXT) | instid1(VALU_DEP_2)
	v_fma_f16 v0, -0.5, v5, v0
	v_pack_b32_f16 v49, v3, v2
	s_delay_alu instid0(VALU_DEP_2) | instskip(SKIP_4) | instid1(VALU_DEP_4)
	v_fmamk_f16 v2, v47, 0xbaee, v0
	v_fmamk_f16 v3, v48, 0x3aee, v46
	v_fmac_f16_e32 v0, 0x3aee, v47
	v_fmac_f16_e32 v46, 0xbaee, v48
	v_add_f16_e32 v47, v1, v10
	v_pack_b32_f16 v50, v2, v3
	ds_load_2addr_b32 v[2:3], v184 offset0:14 offset1:149
	ds_load_2addr_b32 v[4:5], v153 offset0:28 offset1:163
	;; [unrolled: 1-line block ×4, first 2 shown]
	s_waitcnt lgkmcnt(0)
	s_barrier
	buffer_gl0_inv
	scratch_load_b32 v51, off, off offset:292 ; 4-byte Folded Reload
	v_pack_b32_f16 v0, v0, v46
	v_lshrrev_b32_e32 v46, 16, v1
	s_waitcnt vmcnt(0)
	ds_store_b32 v51, v0 offset:400
	v_add_f16_e32 v0, v10, v11
	ds_store_2addr_b32 v51, v49, v50 offset1:50
	v_fmac_f16_e32 v1, -0.5, v0
	v_sub_f16_e32 v0, v12, v13
	s_delay_alu instid0(VALU_DEP_1) | instskip(SKIP_3) | instid1(VALU_DEP_2)
	v_fmamk_f16 v48, v0, 0xbaee, v1
	v_fmac_f16_e32 v1, 0x3aee, v0
	v_add_f16_e32 v0, v12, v13
	v_add_f16_e32 v12, v46, v12
	v_fmac_f16_e32 v46, -0.5, v0
	v_sub_f16_e32 v0, v10, v11
	s_delay_alu instid0(VALU_DEP_1) | instskip(SKIP_1) | instid1(VALU_DEP_2)
	v_fmamk_f16 v10, v0, 0x3aee, v46
	v_fmac_f16_e32 v46, 0xbaee, v0
	v_pack_b32_f16 v10, v48, v10
	s_delay_alu instid0(VALU_DEP_2) | instskip(SKIP_4) | instid1(VALU_DEP_3)
	v_pack_b32_f16 v0, v1, v46
	v_add_f16_e32 v1, v47, v11
	v_add_f16_e32 v11, v12, v13
	;; [unrolled: 1-line block ×3, first 2 shown]
	v_sub_f16_e32 v13, v14, v16
	v_pack_b32_f16 v1, v1, v11
	scratch_load_b32 v11, off, off offset:296 ; 4-byte Folded Reload
	s_waitcnt vmcnt(0)
	ds_store_2addr_b32 v11, v1, v10 offset1:50
	ds_store_b32 v11, v0 offset:400
	v_lshrrev_b32_e32 v0, 16, v2
	v_add_f16_e32 v10, v15, v17
	v_sub_f16_e32 v11, v15, v17
	s_delay_alu instid0(VALU_DEP_3) | instskip(NEXT) | instid1(VALU_DEP_3)
	v_add_f16_e32 v1, v0, v15
	v_fmac_f16_e32 v0, -0.5, v10
	v_add_f16_e32 v10, v2, v14
	v_fma_f16 v2, -0.5, v12, v2
	s_delay_alu instid0(VALU_DEP_4) | instskip(NEXT) | instid1(VALU_DEP_4)
	v_add_f16_e32 v1, v1, v17
	v_fmamk_f16 v12, v13, 0x3aee, v0
	s_delay_alu instid0(VALU_DEP_4) | instskip(SKIP_2) | instid1(VALU_DEP_3)
	v_add_f16_e32 v10, v10, v16
	v_fmac_f16_e32 v0, 0xbaee, v13
	v_lshrrev_b32_e32 v16, 16, v252
	v_pack_b32_f16 v1, v10, v1
	v_fmamk_f16 v10, v11, 0xbaee, v2
	v_fmac_f16_e32 v2, 0x3aee, v11
	s_delay_alu instid0(VALU_DEP_2)
	v_pack_b32_f16 v10, v10, v12
	scratch_load_b32 v12, off, off offset:300 ; 4-byte Folded Reload
	v_pack_b32_f16 v0, v2, v0
	v_add_f16_e32 v2, v3, v18
	s_waitcnt vmcnt(0)
	ds_store_b32 v12, v0 offset:400
	v_add_f16_e32 v0, v18, v19
	ds_store_2addr_b32 v12, v1, v10 offset1:50
	v_lshrrev_b32_e32 v1, 16, v3
	v_fmac_f16_e32 v3, -0.5, v0
	v_sub_f16_e32 v0, v20, v21
	s_delay_alu instid0(VALU_DEP_3) | instskip(NEXT) | instid1(VALU_DEP_2)
	v_add_f16_e32 v11, v1, v20
	v_fmamk_f16 v10, v0, 0xbaee, v3
	v_fmac_f16_e32 v3, 0x3aee, v0
	v_add_f16_e32 v0, v20, v21
	s_delay_alu instid0(VALU_DEP_1) | instskip(SKIP_1) | instid1(VALU_DEP_1)
	v_fmac_f16_e32 v1, -0.5, v0
	v_sub_f16_e32 v0, v18, v19
	v_fmamk_f16 v12, v0, 0x3aee, v1
	v_fmac_f16_e32 v1, 0xbaee, v0
	s_delay_alu instid0(VALU_DEP_1) | instskip(SKIP_4) | instid1(VALU_DEP_2)
	v_pack_b32_f16 v0, v3, v1
	scratch_load_b32 v3, off, off offset:304 ; 4-byte Folded Reload
	v_add_f16_e32 v1, v2, v19
	v_add_f16_e32 v2, v11, v21
	v_sub_f16_e32 v11, v22, v24
	v_pack_b32_f16 v1, v1, v2
	v_pack_b32_f16 v2, v10, v12
	s_waitcnt vmcnt(0)
	ds_store_2addr_b32 v3, v1, v2 offset1:50
	ds_store_b32 v3, v0 offset:400
	v_lshrrev_b32_e32 v0, 16, v4
	v_add_f16_e32 v2, v23, v25
	v_add_f16_e32 v10, v22, v24
	v_sub_f16_e32 v3, v23, v25
	s_delay_alu instid0(VALU_DEP_4) | instskip(NEXT) | instid1(VALU_DEP_4)
	v_add_f16_e32 v1, v0, v23
	v_fmac_f16_e32 v0, -0.5, v2
	v_add_f16_e32 v2, v4, v22
	s_delay_alu instid0(VALU_DEP_3) | instskip(NEXT) | instid1(VALU_DEP_2)
	v_add_f16_e32 v1, v1, v25
	v_add_f16_e32 v2, v2, v24
	v_lshrrev_b32_e32 v24, 16, v210
	s_delay_alu instid0(VALU_DEP_2) | instskip(SKIP_3) | instid1(VALU_DEP_3)
	v_pack_b32_f16 v1, v2, v1
	v_fma_f16 v2, -0.5, v10, v4
	v_fmamk_f16 v10, v11, 0x3aee, v0
	v_fmac_f16_e32 v0, 0xbaee, v11
	v_fmamk_f16 v4, v3, 0xbaee, v2
	v_fmac_f16_e32 v2, 0x3aee, v3
	s_delay_alu instid0(VALU_DEP_2)
	v_pack_b32_f16 v4, v4, v10
	scratch_load_b32 v10, off, off offset:308 ; 4-byte Folded Reload
	v_pack_b32_f16 v0, v2, v0
	v_add_f16_e32 v2, v5, v26
	s_waitcnt vmcnt(0)
	ds_store_b32 v10, v0 offset:400
	v_add_f16_e32 v0, v26, v27
	ds_store_2addr_b32 v10, v1, v4 offset1:50
	v_lshrrev_b32_e32 v1, 16, v5
	v_fmac_f16_e32 v5, -0.5, v0
	v_sub_f16_e32 v0, v28, v29
	s_delay_alu instid0(VALU_DEP_3) | instskip(NEXT) | instid1(VALU_DEP_2)
	v_add_f16_e32 v4, v1, v28
	v_fmamk_f16 v3, v0, 0xbaee, v5
	v_fmac_f16_e32 v5, 0x3aee, v0
	v_add_f16_e32 v0, v28, v29
	s_delay_alu instid0(VALU_DEP_1) | instskip(SKIP_1) | instid1(VALU_DEP_1)
	v_fmac_f16_e32 v1, -0.5, v0
	v_sub_f16_e32 v0, v26, v27
	v_fmamk_f16 v10, v0, 0x3aee, v1
	v_fmac_f16_e32 v1, 0xbaee, v0
	s_delay_alu instid0(VALU_DEP_1) | instskip(SKIP_4) | instid1(VALU_DEP_3)
	v_pack_b32_f16 v0, v5, v1
	v_add_f16_e32 v1, v2, v27
	v_add_f16_e32 v2, v4, v29
	;; [unrolled: 1-line block ×3, first 2 shown]
	v_sub_f16_e32 v5, v30, v32
	v_pack_b32_f16 v1, v1, v2
	v_pack_b32_f16 v2, v3, v10
	scratch_load_b32 v3, off, off offset:312 ; 4-byte Folded Reload
	s_waitcnt vmcnt(0)
	ds_store_2addr_b32 v3, v1, v2 offset1:50
	ds_store_b32 v3, v0 offset:400
	v_lshrrev_b32_e32 v0, 16, v6
	v_add_f16_e32 v2, v31, v33
	v_sub_f16_e32 v3, v31, v33
	s_delay_alu instid0(VALU_DEP_3) | instskip(NEXT) | instid1(VALU_DEP_3)
	v_add_f16_e32 v1, v0, v31
	v_fmac_f16_e32 v0, -0.5, v2
	v_add_f16_e32 v2, v6, v30
	s_delay_alu instid0(VALU_DEP_3) | instskip(NEXT) | instid1(VALU_DEP_2)
	v_add_f16_e32 v1, v1, v33
	v_add_f16_e32 v2, v2, v32
	v_lshrrev_b32_e32 v32, 16, v195
	s_delay_alu instid0(VALU_DEP_2) | instskip(SKIP_3) | instid1(VALU_DEP_3)
	v_pack_b32_f16 v1, v2, v1
	v_fma_f16 v2, -0.5, v4, v6
	v_fmamk_f16 v6, v5, 0x3aee, v0
	v_fmac_f16_e32 v0, 0xbaee, v5
	v_fmamk_f16 v4, v3, 0xbaee, v2
	v_fmac_f16_e32 v2, 0x3aee, v3
	s_delay_alu instid0(VALU_DEP_2)
	v_pack_b32_f16 v4, v4, v6
	scratch_load_b32 v6, off, off offset:316 ; 4-byte Folded Reload
	v_pack_b32_f16 v0, v2, v0
	v_add_f16_e32 v2, v7, v34
	s_waitcnt vmcnt(0)
	ds_store_b32 v6, v0 offset:400
	v_add_f16_e32 v0, v34, v35
	ds_store_2addr_b32 v6, v1, v4 offset1:50
	v_lshrrev_b32_e32 v1, 16, v7
	v_fmac_f16_e32 v7, -0.5, v0
	v_sub_f16_e32 v0, v36, v37
	s_delay_alu instid0(VALU_DEP_3) | instskip(NEXT) | instid1(VALU_DEP_2)
	v_add_f16_e32 v4, v1, v36
	v_fmamk_f16 v3, v0, 0xbaee, v7
	v_fmac_f16_e32 v7, 0x3aee, v0
	v_add_f16_e32 v0, v36, v37
	s_delay_alu instid0(VALU_DEP_1) | instskip(SKIP_1) | instid1(VALU_DEP_1)
	v_fmac_f16_e32 v1, -0.5, v0
	v_sub_f16_e32 v0, v34, v35
	v_fmamk_f16 v5, v0, 0x3aee, v1
	v_fmac_f16_e32 v1, 0xbaee, v0
	s_delay_alu instid0(VALU_DEP_1) | instskip(SKIP_3) | instid1(VALU_DEP_2)
	v_pack_b32_f16 v0, v7, v1
	v_add_f16_e32 v1, v2, v35
	v_add_f16_e32 v2, v4, v37
	;; [unrolled: 1-line block ×3, first 2 shown]
	v_pack_b32_f16 v1, v1, v2
	v_pack_b32_f16 v2, v3, v5
	scratch_load_b32 v3, off, off offset:320 ; 4-byte Folded Reload
	s_waitcnt vmcnt(0)
	ds_store_2addr_b32 v3, v1, v2 offset1:50
	ds_store_b32 v3, v0 offset:400
	v_lshrrev_b32_e32 v0, 16, v8
	v_add_f16_e32 v2, v39, v41
	v_sub_f16_e32 v3, v39, v41
	v_sub_f16_e32 v5, v38, v40
	s_delay_alu instid0(VALU_DEP_4) | instskip(NEXT) | instid1(VALU_DEP_4)
	v_add_f16_e32 v1, v0, v39
	v_fmac_f16_e32 v0, -0.5, v2
	v_add_f16_e32 v2, v8, v38
	s_delay_alu instid0(VALU_DEP_3) | instskip(NEXT) | instid1(VALU_DEP_3)
	v_add_f16_e32 v1, v1, v41
	v_fmamk_f16 v6, v5, 0x3aee, v0
	s_delay_alu instid0(VALU_DEP_3) | instskip(SKIP_2) | instid1(VALU_DEP_3)
	v_add_f16_e32 v2, v2, v40
	v_fmac_f16_e32 v0, 0xbaee, v5
	v_lshrrev_b32_e32 v40, 16, v255
	v_pack_b32_f16 v1, v2, v1
	v_fma_f16 v2, -0.5, v4, v8
	v_lshrrev_b32_e32 v8, 16, v193
	s_delay_alu instid0(VALU_DEP_2) | instskip(SKIP_1) | instid1(VALU_DEP_2)
	v_fmamk_f16 v4, v3, 0xbaee, v2
	v_fmac_f16_e32 v2, 0x3aee, v3
	v_pack_b32_f16 v4, v4, v6
	scratch_load_b32 v6, off, off offset:328 ; 4-byte Folded Reload
	v_pack_b32_f16 v0, v2, v0
	v_add_f16_e32 v2, v9, v42
	s_waitcnt vmcnt(0)
	ds_store_b32 v6, v0 offset:400
	v_add_f16_e32 v0, v42, v43
	ds_store_2addr_b32 v6, v1, v4 offset1:50
	v_lshrrev_b32_e32 v1, 16, v9
	v_fmac_f16_e32 v9, -0.5, v0
	v_sub_f16_e32 v0, v44, v45
	s_delay_alu instid0(VALU_DEP_3) | instskip(NEXT) | instid1(VALU_DEP_2)
	v_add_f16_e32 v4, v1, v44
	v_fmamk_f16 v3, v0, 0xbaee, v9
	v_fmac_f16_e32 v9, 0x3aee, v0
	v_add_f16_e32 v0, v44, v45
	s_delay_alu instid0(VALU_DEP_1) | instskip(SKIP_1) | instid1(VALU_DEP_1)
	v_fmac_f16_e32 v1, -0.5, v0
	v_sub_f16_e32 v0, v42, v43
	v_fmamk_f16 v5, v0, 0x3aee, v1
	v_fmac_f16_e32 v1, 0xbaee, v0
	s_delay_alu instid0(VALU_DEP_1) | instskip(SKIP_3) | instid1(VALU_DEP_2)
	v_pack_b32_f16 v0, v9, v1
	v_add_f16_e32 v1, v2, v43
	v_add_f16_e32 v2, v4, v45
	v_lshrrev_b32_e32 v4, 16, v192
	v_pack_b32_f16 v1, v1, v2
	v_pack_b32_f16 v2, v3, v5
	scratch_load_b32 v3, off, off offset:324 ; 4-byte Folded Reload
	s_waitcnt vmcnt(0)
	ds_store_2addr_b32 v3, v1, v2 offset1:50
	ds_store_b32 v3, v0 offset:400
	s_waitcnt lgkmcnt(0)
	s_barrier
	buffer_gl0_inv
	ds_load_2addr_b32 v[0:1], v212 offset0:70 offset1:205
	s_waitcnt lgkmcnt(0)
	v_lshrrev_b32_e32 v2, 16, v0
	v_mul_f16_e32 v3, v4, v0
	s_delay_alu instid0(VALU_DEP_2) | instskip(NEXT) | instid1(VALU_DEP_2)
	v_mul_f16_e32 v4, v4, v2
	v_fma_f16 v5, v192, v2, -v3
	ds_load_2addr_b32 v[2:3], v174 offset0:12 offset1:147
	v_fmac_f16_e64 v4, v192, v0
	v_lshrrev_b32_e32 v0, 16, v1
	s_waitcnt lgkmcnt(0)
	v_lshrrev_b32_e32 v6, 16, v2
	v_mul_f16_e32 v7, v8, v2
	s_delay_alu instid0(VALU_DEP_2) | instskip(NEXT) | instid1(VALU_DEP_2)
	v_mul_f16_e32 v8, v8, v6
	v_fma_f16 v6, v193, v6, -v7
	v_lshrrev_b32_e32 v7, 16, v199
	s_delay_alu instid0(VALU_DEP_3) | instskip(SKIP_1) | instid1(VALU_DEP_4)
	v_fmac_f16_e64 v8, v193, v2
	v_lshrrev_b32_e32 v2, 16, v198
	v_sub_f16_e32 v47, v5, v6
	s_delay_alu instid0(VALU_DEP_3) | instskip(NEXT) | instid1(VALU_DEP_3)
	v_sub_f16_e32 v48, v4, v8
	v_mul_f16_e32 v10, v2, v0
	s_delay_alu instid0(VALU_DEP_1) | instskip(SKIP_2) | instid1(VALU_DEP_2)
	v_fmac_f16_e64 v10, v198, v1
	v_mul_f16_e32 v1, v2, v1
	v_lshrrev_b32_e32 v2, 16, v3
	v_fma_f16 v12, v198, v0, -v1
	ds_load_2addr_b32 v[0:1], v180 offset0:84 offset1:219
	v_mul_f16_e32 v11, v7, v2
	v_mul_f16_e32 v7, v7, v3
	s_delay_alu instid0(VALU_DEP_2) | instskip(NEXT) | instid1(VALU_DEP_2)
	v_fmac_f16_e64 v11, v199, v3
	v_fma_f16 v13, v199, v2, -v7
	v_lshrrev_b32_e32 v7, 16, v251
	s_waitcnt lgkmcnt(0)
	v_lshrrev_b32_e32 v2, 16, v0
	s_delay_alu instid0(VALU_DEP_2) | instskip(NEXT) | instid1(VALU_DEP_2)
	v_mul_f16_e32 v3, v7, v0
	v_mul_f16_e32 v14, v7, v2
	s_delay_alu instid0(VALU_DEP_2)
	v_fma_f16 v15, v251, v2, -v3
	ds_load_2addr_b32 v[2:3], v179 offset0:26 offset1:161
	v_fmac_f16_e64 v14, v251, v0
	v_lshrrev_b32_e32 v0, 16, v1
	s_waitcnt lgkmcnt(0)
	v_lshrrev_b32_e32 v7, 16, v2
	v_mul_f16_e32 v9, v16, v2
	s_delay_alu instid0(VALU_DEP_2) | instskip(NEXT) | instid1(VALU_DEP_2)
	v_mul_f16_e32 v16, v16, v7
	v_fma_f16 v17, v252, v7, -v9
	v_lshrrev_b32_e32 v7, 16, v250
	s_delay_alu instid0(VALU_DEP_3) | instskip(SKIP_1) | instid1(VALU_DEP_1)
	v_fmac_f16_e64 v16, v252, v2
	v_lshrrev_b32_e32 v2, 16, v249
	v_mul_f16_e32 v18, v2, v0
	s_delay_alu instid0(VALU_DEP_1) | instskip(SKIP_2) | instid1(VALU_DEP_2)
	v_fmac_f16_e64 v18, v249, v1
	v_mul_f16_e32 v1, v2, v1
	v_lshrrev_b32_e32 v2, 16, v3
	v_fma_f16 v20, v249, v0, -v1
	ds_load_2addr_b32 v[0:1], v178 offset0:98 offset1:233
	v_mul_f16_e32 v19, v7, v2
	v_mul_f16_e32 v7, v7, v3
	s_delay_alu instid0(VALU_DEP_2) | instskip(NEXT) | instid1(VALU_DEP_2)
	v_fmac_f16_e64 v19, v250, v3
	v_fma_f16 v21, v250, v2, -v7
	v_lshrrev_b32_e32 v7, 16, v209
	s_waitcnt lgkmcnt(0)
	v_lshrrev_b32_e32 v2, 16, v0
	s_delay_alu instid0(VALU_DEP_2) | instskip(NEXT) | instid1(VALU_DEP_2)
	v_mul_f16_e32 v3, v7, v0
	v_mul_f16_e32 v22, v7, v2
	s_delay_alu instid0(VALU_DEP_2)
	v_fma_f16 v23, v209, v2, -v3
	ds_load_2addr_b32 v[2:3], v170 offset0:40 offset1:175
	v_fmac_f16_e64 v22, v209, v0
	v_lshrrev_b32_e32 v0, 16, v1
	s_waitcnt lgkmcnt(0)
	v_lshrrev_b32_e32 v7, 16, v2
	v_mul_f16_e32 v9, v24, v2
	s_delay_alu instid0(VALU_DEP_2) | instskip(NEXT) | instid1(VALU_DEP_2)
	v_mul_f16_e32 v24, v24, v7
	v_fma_f16 v25, v210, v7, -v9
	v_lshrrev_b32_e32 v7, 16, v173
	s_delay_alu instid0(VALU_DEP_3) | instskip(SKIP_1) | instid1(VALU_DEP_1)
	v_fmac_f16_e64 v24, v210, v2
	v_lshrrev_b32_e32 v2, 16, v172
	;; [unrolled: 33-line block ×4, first 2 shown]
	v_mul_f16_e32 v42, v2, v0
	s_delay_alu instid0(VALU_DEP_1) | instskip(SKIP_2) | instid1(VALU_DEP_2)
	v_fmac_f16_e64 v42, v247, v1
	v_mul_f16_e32 v1, v2, v1
	v_lshrrev_b32_e32 v2, 16, v3
	v_fma_f16 v44, v247, v0, -v1
	ds_load_2addr_b32 v[0:1], v175 offset1:135
	v_mul_f16_e32 v43, v7, v2
	v_mul_f16_e32 v7, v7, v3
	s_delay_alu instid0(VALU_DEP_2) | instskip(SKIP_1) | instid1(VALU_DEP_3)
	v_fmac_f16_e64 v43, v248, v3
	v_add_f16_e32 v3, v5, v6
	v_fma_f16 v45, v248, v2, -v7
	s_waitcnt lgkmcnt(0)
	v_lshrrev_b32_e32 v46, 16, v0
	v_add_f16_e32 v51, v1, v10
	s_delay_alu instid0(VALU_DEP_2) | instskip(SKIP_3) | instid1(VALU_DEP_4)
	v_add_f16_e32 v2, v46, v5
	v_fmac_f16_e32 v46, -0.5, v3
	v_add_f16_e32 v3, v0, v4
	v_add_f16_e32 v5, v4, v8
	;; [unrolled: 1-line block ×3, first 2 shown]
	s_delay_alu instid0(VALU_DEP_3) | instskip(NEXT) | instid1(VALU_DEP_3)
	v_add_f16_e32 v3, v3, v8
	v_fma_f16 v0, -0.5, v5, v0
	s_delay_alu instid0(VALU_DEP_2) | instskip(NEXT) | instid1(VALU_DEP_2)
	v_pack_b32_f16 v49, v3, v2
	v_fmamk_f16 v2, v47, 0xbaee, v0
	v_fmamk_f16 v3, v48, 0x3aee, v46
	v_fmac_f16_e32 v0, 0x3aee, v47
	v_fmac_f16_e32 v46, 0xbaee, v48
	s_delay_alu instid0(VALU_DEP_3)
	v_pack_b32_f16 v50, v2, v3
	ds_load_2addr_b32 v[2:3], v184 offset0:14 offset1:149
	ds_load_2addr_b32 v[4:5], v153 offset0:28 offset1:163
	;; [unrolled: 1-line block ×4, first 2 shown]
	v_pack_b32_f16 v0, v0, v46
	s_waitcnt lgkmcnt(0)
	s_barrier
	buffer_gl0_inv
	ds_store_2addr_b32 v175, v49, v50 offset1:150
	ds_store_b32 v175, v0 offset:1200
	scratch_load_b32 v0, off, off offset:252 ; 4-byte Folded Reload
	v_add_f16_e32 v49, v10, v11
	v_lshrrev_b32_e32 v50, 16, v1
	v_sub_f16_e32 v10, v10, v11
	s_delay_alu instid0(VALU_DEP_3) | instskip(SKIP_1) | instid1(VALU_DEP_1)
	v_fmac_f16_e32 v1, -0.5, v49
	v_sub_f16_e32 v49, v12, v13
	v_fmamk_f16 v52, v49, 0xbaee, v1
	v_fmac_f16_e32 v1, 0x3aee, v49
	v_add_f16_e32 v49, v12, v13
	v_add_f16_e32 v12, v50, v12
	s_delay_alu instid0(VALU_DEP_2) | instskip(NEXT) | instid1(VALU_DEP_1)
	v_fmac_f16_e32 v50, -0.5, v49
	v_fmamk_f16 v49, v10, 0x3aee, v50
	v_fmac_f16_e32 v50, 0xbaee, v10
	v_add_f16_e32 v10, v51, v11
	v_add_f16_e32 v11, v12, v13
	;; [unrolled: 1-line block ×3, first 2 shown]
	v_sub_f16_e32 v13, v14, v16
	v_pack_b32_f16 v1, v1, v50
	s_delay_alu instid0(VALU_DEP_4)
	v_pack_b32_f16 v10, v10, v11
	v_pack_b32_f16 v11, v52, v49
	s_waitcnt vmcnt(0)
	ds_store_2addr_b32 v0, v10, v11 offset1:150
	ds_store_b32 v0, v1 offset:1200
	v_lshrrev_b32_e32 v0, 16, v2
	v_add_f16_e32 v10, v15, v17
	v_sub_f16_e32 v11, v15, v17
	s_delay_alu instid0(VALU_DEP_3) | instskip(NEXT) | instid1(VALU_DEP_3)
	v_add_f16_e32 v1, v0, v15
	v_fmac_f16_e32 v0, -0.5, v10
	v_add_f16_e32 v10, v2, v14
	v_fma_f16 v2, -0.5, v12, v2
	s_delay_alu instid0(VALU_DEP_4) | instskip(NEXT) | instid1(VALU_DEP_4)
	v_add_f16_e32 v1, v1, v17
	v_fmamk_f16 v12, v13, 0x3aee, v0
	s_delay_alu instid0(VALU_DEP_4) | instskip(SKIP_1) | instid1(VALU_DEP_2)
	v_add_f16_e32 v10, v10, v16
	v_fmac_f16_e32 v0, 0xbaee, v13
	v_pack_b32_f16 v1, v10, v1
	v_fmamk_f16 v10, v11, 0xbaee, v2
	v_fmac_f16_e32 v2, 0x3aee, v11
	s_delay_alu instid0(VALU_DEP_2)
	v_pack_b32_f16 v10, v10, v12
	scratch_load_b32 v12, off, off offset:256 ; 4-byte Folded Reload
	v_pack_b32_f16 v0, v2, v0
	v_add_f16_e32 v2, v3, v18
	s_waitcnt vmcnt(0)
	ds_store_b32 v12, v0 offset:1200
	v_add_f16_e32 v0, v18, v19
	ds_store_2addr_b32 v12, v1, v10 offset1:150
	v_lshrrev_b32_e32 v1, 16, v3
	v_fmac_f16_e32 v3, -0.5, v0
	v_sub_f16_e32 v0, v20, v21
	s_delay_alu instid0(VALU_DEP_3) | instskip(NEXT) | instid1(VALU_DEP_2)
	v_add_f16_e32 v11, v1, v20
	v_fmamk_f16 v10, v0, 0xbaee, v3
	v_fmac_f16_e32 v3, 0x3aee, v0
	v_add_f16_e32 v0, v20, v21
	s_delay_alu instid0(VALU_DEP_1) | instskip(SKIP_1) | instid1(VALU_DEP_1)
	v_fmac_f16_e32 v1, -0.5, v0
	v_sub_f16_e32 v0, v18, v19
	v_fmamk_f16 v12, v0, 0x3aee, v1
	v_fmac_f16_e32 v1, 0xbaee, v0
	s_delay_alu instid0(VALU_DEP_1) | instskip(SKIP_4) | instid1(VALU_DEP_2)
	v_pack_b32_f16 v0, v3, v1
	scratch_load_b32 v3, off, off offset:260 ; 4-byte Folded Reload
	v_add_f16_e32 v1, v2, v19
	v_add_f16_e32 v2, v11, v21
	v_sub_f16_e32 v11, v22, v24
	v_pack_b32_f16 v1, v1, v2
	v_pack_b32_f16 v2, v10, v12
	s_waitcnt vmcnt(0)
	ds_store_2addr_b32 v3, v1, v2 offset1:150
	ds_store_b32 v3, v0 offset:1200
	v_lshrrev_b32_e32 v0, 16, v4
	v_add_f16_e32 v2, v23, v25
	v_add_f16_e32 v10, v22, v24
	v_sub_f16_e32 v3, v23, v25
	s_delay_alu instid0(VALU_DEP_4) | instskip(NEXT) | instid1(VALU_DEP_4)
	v_add_f16_e32 v1, v0, v23
	v_fmac_f16_e32 v0, -0.5, v2
	v_add_f16_e32 v2, v4, v22
	s_delay_alu instid0(VALU_DEP_3) | instskip(NEXT) | instid1(VALU_DEP_2)
	v_add_f16_e32 v1, v1, v25
	v_add_f16_e32 v2, v2, v24
	s_delay_alu instid0(VALU_DEP_1) | instskip(SKIP_3) | instid1(VALU_DEP_3)
	v_pack_b32_f16 v1, v2, v1
	v_fma_f16 v2, -0.5, v10, v4
	v_fmamk_f16 v10, v11, 0x3aee, v0
	v_fmac_f16_e32 v0, 0xbaee, v11
	v_fmamk_f16 v4, v3, 0xbaee, v2
	v_fmac_f16_e32 v2, 0x3aee, v3
	s_delay_alu instid0(VALU_DEP_2)
	v_pack_b32_f16 v4, v4, v10
	scratch_load_b32 v10, off, off offset:264 ; 4-byte Folded Reload
	v_pack_b32_f16 v0, v2, v0
	v_add_f16_e32 v2, v5, v26
	s_waitcnt vmcnt(0)
	ds_store_b32 v10, v0 offset:1200
	v_add_f16_e32 v0, v26, v27
	ds_store_2addr_b32 v10, v1, v4 offset1:150
	v_lshrrev_b32_e32 v1, 16, v5
	v_fmac_f16_e32 v5, -0.5, v0
	v_sub_f16_e32 v0, v28, v29
	s_delay_alu instid0(VALU_DEP_3) | instskip(NEXT) | instid1(VALU_DEP_2)
	v_add_f16_e32 v4, v1, v28
	v_fmamk_f16 v3, v0, 0xbaee, v5
	v_fmac_f16_e32 v5, 0x3aee, v0
	v_add_f16_e32 v0, v28, v29
	s_delay_alu instid0(VALU_DEP_1) | instskip(SKIP_1) | instid1(VALU_DEP_1)
	v_fmac_f16_e32 v1, -0.5, v0
	v_sub_f16_e32 v0, v26, v27
	v_fmamk_f16 v10, v0, 0x3aee, v1
	v_fmac_f16_e32 v1, 0xbaee, v0
	s_delay_alu instid0(VALU_DEP_1) | instskip(SKIP_4) | instid1(VALU_DEP_3)
	v_pack_b32_f16 v0, v5, v1
	v_add_f16_e32 v1, v2, v27
	v_add_f16_e32 v2, v4, v29
	v_add_f16_e32 v4, v30, v32
	v_sub_f16_e32 v5, v30, v32
	v_pack_b32_f16 v1, v1, v2
	v_pack_b32_f16 v2, v3, v10
	scratch_load_b32 v3, off, off offset:268 ; 4-byte Folded Reload
	s_waitcnt vmcnt(0)
	ds_store_2addr_b32 v3, v1, v2 offset1:150
	ds_store_b32 v3, v0 offset:1200
	v_lshrrev_b32_e32 v0, 16, v6
	v_add_f16_e32 v2, v31, v33
	v_sub_f16_e32 v3, v31, v33
	s_delay_alu instid0(VALU_DEP_3) | instskip(NEXT) | instid1(VALU_DEP_3)
	v_add_f16_e32 v1, v0, v31
	v_fmac_f16_e32 v0, -0.5, v2
	v_add_f16_e32 v2, v6, v30
	s_delay_alu instid0(VALU_DEP_3) | instskip(NEXT) | instid1(VALU_DEP_2)
	v_add_f16_e32 v1, v1, v33
	v_add_f16_e32 v2, v2, v32
	s_delay_alu instid0(VALU_DEP_1) | instskip(SKIP_3) | instid1(VALU_DEP_3)
	v_pack_b32_f16 v1, v2, v1
	v_fma_f16 v2, -0.5, v4, v6
	v_fmamk_f16 v6, v5, 0x3aee, v0
	v_fmac_f16_e32 v0, 0xbaee, v5
	v_fmamk_f16 v4, v3, 0xbaee, v2
	v_fmac_f16_e32 v2, 0x3aee, v3
	s_delay_alu instid0(VALU_DEP_2)
	v_pack_b32_f16 v4, v4, v6
	scratch_load_b32 v6, off, off offset:272 ; 4-byte Folded Reload
	v_pack_b32_f16 v0, v2, v0
	v_add_f16_e32 v2, v7, v34
	s_waitcnt vmcnt(0)
	ds_store_b32 v6, v0 offset:1200
	v_add_f16_e32 v0, v34, v35
	ds_store_2addr_b32 v6, v1, v4 offset1:150
	v_lshrrev_b32_e32 v1, 16, v7
	v_fmac_f16_e32 v7, -0.5, v0
	v_sub_f16_e32 v0, v36, v37
	s_delay_alu instid0(VALU_DEP_3) | instskip(NEXT) | instid1(VALU_DEP_2)
	v_add_f16_e32 v4, v1, v36
	v_fmamk_f16 v3, v0, 0xbaee, v7
	v_fmac_f16_e32 v7, 0x3aee, v0
	v_add_f16_e32 v0, v36, v37
	s_delay_alu instid0(VALU_DEP_1) | instskip(SKIP_1) | instid1(VALU_DEP_1)
	v_fmac_f16_e32 v1, -0.5, v0
	v_sub_f16_e32 v0, v34, v35
	v_fmamk_f16 v5, v0, 0x3aee, v1
	v_fmac_f16_e32 v1, 0xbaee, v0
	s_delay_alu instid0(VALU_DEP_1) | instskip(SKIP_3) | instid1(VALU_DEP_2)
	v_pack_b32_f16 v0, v7, v1
	v_add_f16_e32 v1, v2, v35
	v_add_f16_e32 v2, v4, v37
	;; [unrolled: 1-line block ×3, first 2 shown]
	v_pack_b32_f16 v1, v1, v2
	v_pack_b32_f16 v2, v3, v5
	scratch_load_b32 v3, off, off offset:276 ; 4-byte Folded Reload
	s_waitcnt vmcnt(0)
	ds_store_2addr_b32 v3, v1, v2 offset1:150
	ds_store_b32 v3, v0 offset:1200
	v_lshrrev_b32_e32 v0, 16, v8
	v_add_f16_e32 v2, v39, v41
	v_sub_f16_e32 v3, v39, v41
	v_sub_f16_e32 v5, v38, v40
	s_delay_alu instid0(VALU_DEP_4) | instskip(NEXT) | instid1(VALU_DEP_4)
	v_add_f16_e32 v1, v0, v39
	v_fmac_f16_e32 v0, -0.5, v2
	v_add_f16_e32 v2, v8, v38
	s_delay_alu instid0(VALU_DEP_3) | instskip(NEXT) | instid1(VALU_DEP_3)
	v_add_f16_e32 v1, v1, v41
	v_fmamk_f16 v6, v5, 0x3aee, v0
	s_delay_alu instid0(VALU_DEP_3) | instskip(SKIP_1) | instid1(VALU_DEP_2)
	v_add_f16_e32 v2, v2, v40
	v_fmac_f16_e32 v0, 0xbaee, v5
	v_pack_b32_f16 v1, v2, v1
	v_fma_f16 v2, -0.5, v4, v8
	v_lshrrev_b32_e32 v8, 16, v246
	s_delay_alu instid0(VALU_DEP_2) | instskip(SKIP_2) | instid1(VALU_DEP_3)
	v_fmamk_f16 v4, v3, 0xbaee, v2
	v_fmac_f16_e32 v2, 0x3aee, v3
	v_add_f16_e32 v3, v44, v45
	v_pack_b32_f16 v4, v4, v6
	scratch_load_b32 v6, off, off offset:288 ; 4-byte Folded Reload
	v_pack_b32_f16 v0, v2, v0
	v_add_f16_e32 v2, v9, v42
	s_delay_alu instid0(VALU_DEP_1)
	v_add_f16_e32 v2, v2, v43
	s_waitcnt vmcnt(0)
	ds_store_2addr_b32 v6, v1, v4 offset1:150
	ds_store_b32 v6, v0 offset:1200
	v_add_f16_e32 v0, v42, v43
	v_lshrrev_b32_e32 v1, 16, v9
	v_sub_f16_e32 v4, v44, v45
	s_delay_alu instid0(VALU_DEP_3) | instskip(NEXT) | instid1(VALU_DEP_3)
	v_fmac_f16_e32 v9, -0.5, v0
	v_add_f16_e32 v0, v1, v44
	v_fmac_f16_e32 v1, -0.5, v3
	v_sub_f16_e32 v3, v42, v43
	s_delay_alu instid0(VALU_DEP_3) | instskip(NEXT) | instid1(VALU_DEP_2)
	v_add_f16_e32 v0, v0, v45
	v_fmamk_f16 v5, v3, 0x3aee, v1
	v_fmac_f16_e32 v1, 0xbaee, v3
	s_delay_alu instid0(VALU_DEP_3) | instskip(SKIP_3) | instid1(VALU_DEP_3)
	v_pack_b32_f16 v0, v2, v0
	v_fmamk_f16 v2, v4, 0xbaee, v9
	v_fmac_f16_e32 v9, 0x3aee, v4
	v_lshrrev_b32_e32 v4, 16, v245
	v_pack_b32_f16 v2, v2, v5
	scratch_load_b32 v5, off, off offset:280 ; 4-byte Folded Reload
	s_waitcnt vmcnt(0)
	ds_store_2addr_b32 v5, v0, v2 offset0:16 offset1:166
	v_pack_b32_f16 v0, v9, v1
	scratch_load_b32 v1, off, off offset:284 ; 4-byte Folded Reload
	s_waitcnt vmcnt(0)
	ds_store_b32 v1, v0 offset:15600
	s_waitcnt lgkmcnt(0)
	s_barrier
	buffer_gl0_inv
	ds_load_2addr_b32 v[0:1], v212 offset0:70 offset1:205
	s_waitcnt lgkmcnt(0)
	v_lshrrev_b32_e32 v2, 16, v0
	v_mul_f16_e32 v3, v4, v0
	s_delay_alu instid0(VALU_DEP_2) | instskip(NEXT) | instid1(VALU_DEP_2)
	v_mul_f16_e32 v4, v4, v2
	v_fma_f16 v5, v245, v2, -v3
	ds_load_2addr_b32 v[2:3], v174 offset0:12 offset1:147
	v_fmac_f16_e64 v4, v245, v0
	v_lshrrev_b32_e32 v0, 16, v1
	s_waitcnt lgkmcnt(0)
	v_lshrrev_b32_e32 v6, 16, v2
	v_mul_f16_e32 v7, v8, v2
	s_delay_alu instid0(VALU_DEP_2) | instskip(NEXT) | instid1(VALU_DEP_2)
	v_mul_f16_e32 v8, v8, v6
	v_fma_f16 v6, v246, v6, -v7
	v_lshrrev_b32_e32 v7, 16, v82
	s_delay_alu instid0(VALU_DEP_3) | instskip(SKIP_1) | instid1(VALU_DEP_1)
	v_fmac_f16_e64 v8, v246, v2
	v_lshrrev_b32_e32 v2, 16, v81
	v_mul_f16_e32 v10, v2, v0
	s_delay_alu instid0(VALU_DEP_1) | instskip(SKIP_2) | instid1(VALU_DEP_2)
	v_fmac_f16_e32 v10, v81, v1
	v_mul_f16_e32 v1, v2, v1
	v_lshrrev_b32_e32 v2, 16, v3
	v_fma_f16 v12, v81, v0, -v1
	ds_load_2addr_b32 v[0:1], v180 offset0:84 offset1:219
	v_mul_f16_e32 v11, v7, v2
	v_mul_f16_e32 v7, v7, v3
	s_delay_alu instid0(VALU_DEP_2) | instskip(NEXT) | instid1(VALU_DEP_2)
	v_fmac_f16_e32 v11, v82, v3
	v_fma_f16 v13, v82, v2, -v7
	s_waitcnt lgkmcnt(0)
	v_lshrrev_b32_e32 v2, 16, v0
	v_mul_f16_e64 v3, v229, v0
	s_delay_alu instid0(VALU_DEP_2) | instskip(NEXT) | instid1(VALU_DEP_2)
	v_mul_f16_e64 v14, v229, v2
	v_fma_f16 v15, v85, v2, -v3
	ds_load_2addr_b32 v[2:3], v179 offset0:26 offset1:161
	v_fmac_f16_e32 v14, v85, v0
	v_lshrrev_b32_e32 v0, 16, v1
	s_delay_alu instid0(VALU_DEP_1) | instskip(NEXT) | instid1(VALU_DEP_1)
	v_mul_f16_e64 v18, v213, v0
	v_fmac_f16_e32 v18, v83, v1
	v_mul_f16_e64 v1, v213, v1
	s_waitcnt lgkmcnt(0)
	v_lshrrev_b32_e32 v7, 16, v2
	s_delay_alu instid0(VALU_DEP_2) | instskip(SKIP_3) | instid1(VALU_DEP_2)
	v_fma_f16 v20, v83, v0, -v1
	ds_load_2addr_b32 v[0:1], v178 offset0:98 offset1:233
	v_mul_f16_e64 v9, v232, v2
	v_mul_f16_e64 v16, v232, v7
	v_fma_f16 v17, v86, v7, -v9
	v_mul_f16_e64 v7, v214, v3
	s_delay_alu instid0(VALU_DEP_3) | instskip(SKIP_1) | instid1(VALU_DEP_1)
	v_fmac_f16_e32 v16, v86, v2
	v_lshrrev_b32_e32 v2, 16, v3
	v_mul_f16_e64 v19, v214, v2
	s_delay_alu instid0(VALU_DEP_4) | instskip(SKIP_1) | instid1(VALU_DEP_3)
	v_fma_f16 v21, v84, v2, -v7
	v_lshrrev_b32_e32 v7, 16, v71
	v_fmac_f16_e32 v19, v84, v3
	s_waitcnt lgkmcnt(0)
	v_lshrrev_b32_e32 v2, 16, v0
	s_delay_alu instid0(VALU_DEP_3) | instskip(NEXT) | instid1(VALU_DEP_2)
	v_mul_f16_e32 v3, v7, v0
	v_mul_f16_e32 v22, v7, v2
	s_delay_alu instid0(VALU_DEP_2) | instskip(SKIP_3) | instid1(VALU_DEP_1)
	v_fma_f16 v23, v71, v2, -v3
	ds_load_2addr_b32 v[2:3], v170 offset0:40 offset1:175
	v_fmac_f16_e32 v22, v71, v0
	v_lshrrev_b32_e32 v0, 16, v1
	v_mul_f16_e64 v26, v211, v0
	s_delay_alu instid0(VALU_DEP_1) | instskip(SKIP_3) | instid1(VALU_DEP_2)
	v_fmac_f16_e32 v26, v69, v1
	v_mul_f16_e64 v1, v211, v1
	s_waitcnt lgkmcnt(0)
	v_lshrrev_b32_e32 v7, 16, v2
	v_fma_f16 v28, v69, v0, -v1
	ds_load_2addr_b32 v[0:1], v189 offset0:112 offset1:247
	v_mul_f16_e64 v9, v205, v2
	v_mul_f16_e64 v24, v205, v7
	s_delay_alu instid0(VALU_DEP_2) | instskip(SKIP_1) | instid1(VALU_DEP_3)
	v_fma_f16 v25, v72, v7, -v9
	v_mul_f16_e64 v7, v208, v3
	v_fmac_f16_e32 v24, v72, v2
	v_lshrrev_b32_e32 v2, 16, v3
	s_delay_alu instid0(VALU_DEP_1) | instskip(NEXT) | instid1(VALU_DEP_4)
	v_mul_f16_e64 v27, v208, v2
	v_fma_f16 v29, v70, v2, -v7
	s_delay_alu instid0(VALU_DEP_2) | instskip(SKIP_3) | instid1(VALU_DEP_2)
	v_fmac_f16_e32 v27, v70, v3
	s_waitcnt lgkmcnt(0)
	v_lshrrev_b32_e32 v2, 16, v0
	v_mul_f16_e64 v3, v218, v0
	v_mul_f16_e64 v30, v218, v2
	s_delay_alu instid0(VALU_DEP_2) | instskip(SKIP_3) | instid1(VALU_DEP_1)
	v_fma_f16 v31, v79, v2, -v3
	ds_load_2addr_b32 v[2:3], v167 offset0:54 offset1:189
	v_fmac_f16_e32 v30, v79, v0
	v_lshrrev_b32_e32 v0, 16, v1
	v_mul_f16_e64 v34, v231, v0
	s_delay_alu instid0(VALU_DEP_1) | instskip(SKIP_3) | instid1(VALU_DEP_2)
	v_fmac_f16_e32 v34, v77, v1
	v_mul_f16_e64 v1, v231, v1
	s_waitcnt lgkmcnt(0)
	v_lshrrev_b32_e32 v7, 16, v2
	v_fma_f16 v36, v77, v0, -v1
	ds_load_2addr_b32 v[0:1], v171 offset0:62 offset1:197
	v_mul_f16_e64 v9, v220, v2
	v_mul_f16_e64 v32, v220, v7
	s_delay_alu instid0(VALU_DEP_2) | instskip(SKIP_1) | instid1(VALU_DEP_3)
	v_fma_f16 v33, v80, v7, -v9
	v_mul_f16_e64 v7, v236, v3
	v_fmac_f16_e32 v32, v80, v2
	v_lshrrev_b32_e32 v2, 16, v3
	s_delay_alu instid0(VALU_DEP_1) | instskip(NEXT) | instid1(VALU_DEP_4)
	v_mul_f16_e64 v35, v236, v2
	v_fma_f16 v37, v78, v2, -v7
	s_delay_alu instid0(VALU_DEP_2) | instskip(SKIP_3) | instid1(VALU_DEP_2)
	v_fmac_f16_e32 v35, v78, v3
	s_waitcnt lgkmcnt(0)
	v_lshrrev_b32_e32 v2, 16, v0
	v_mul_f16_e64 v3, v181, v0
	v_mul_f16_e64 v38, v181, v2
	s_delay_alu instid0(VALU_DEP_2) | instskip(SKIP_3) | instid1(VALU_DEP_1)
	v_fma_f16 v39, v75, v2, -v3
	ds_load_2addr_b32 v[2:3], v156 offset0:68 offset1:203
	v_fmac_f16_e32 v38, v75, v0
	v_lshrrev_b32_e32 v0, 16, v1
	v_mul_f16_e64 v42, v186, v0
	s_delay_alu instid0(VALU_DEP_1) | instskip(SKIP_3) | instid1(VALU_DEP_2)
	v_fmac_f16_e32 v42, v73, v1
	v_mul_f16_e64 v1, v186, v1
	s_waitcnt lgkmcnt(0)
	v_lshrrev_b32_e32 v7, 16, v2
	v_fma_f16 v44, v73, v0, -v1
	ds_load_2addr_b32 v[0:1], v175 offset1:135
	v_mul_f16_e64 v9, v228, v2
	v_mul_f16_e64 v40, v228, v7
	s_delay_alu instid0(VALU_DEP_2) | instskip(SKIP_1) | instid1(VALU_DEP_3)
	v_fma_f16 v41, v76, v7, -v9
	v_mul_f16_e64 v7, v185, v3
	v_fmac_f16_e32 v40, v76, v2
	v_lshrrev_b32_e32 v2, 16, v3
	v_add_f16_e32 v9, v4, v8
	s_delay_alu instid0(VALU_DEP_2) | instskip(SKIP_1) | instid1(VALU_DEP_2)
	v_mul_f16_e64 v43, v185, v2
	v_fma_f16 v45, v74, v2, -v7
	v_fmac_f16_e32 v43, v74, v3
	s_waitcnt lgkmcnt(0)
	v_lshrrev_b32_e32 v2, 16, v0
	v_add_f16_e32 v3, v5, v6
	v_lshrrev_b32_e32 v48, 16, v1
	s_delay_alu instid0(VALU_DEP_3) | instskip(NEXT) | instid1(VALU_DEP_3)
	v_add_f16_e32 v7, v2, v5
	v_fmac_f16_e32 v2, -0.5, v3
	v_add_f16_e32 v3, v0, v4
	v_sub_f16_e32 v4, v4, v8
	v_fma_f16 v0, -0.5, v9, v0
	v_sub_f16_e32 v5, v5, v6
	s_delay_alu instid0(VALU_DEP_4) | instskip(NEXT) | instid1(VALU_DEP_2)
	v_add_f16_e32 v3, v3, v8
	v_fmamk_f16 v8, v5, 0xbaee, v0
	v_fmac_f16_e32 v0, 0x3aee, v5
	v_add_f16_e32 v5, v7, v6
	v_fmamk_f16 v6, v4, 0x3aee, v2
	v_fmac_f16_e32 v2, 0xbaee, v4
	s_delay_alu instid0(VALU_DEP_3) | instskip(SKIP_1) | instid1(VALU_DEP_3)
	v_pack_b32_f16 v46, v3, v5
	v_add_f16_e32 v3, v48, v12
	v_pack_b32_f16 v0, v0, v2
	v_add_f16_e32 v2, v1, v10
	v_pack_b32_f16 v47, v8, v6
	s_delay_alu instid0(VALU_DEP_4) | instskip(NEXT) | instid1(VALU_DEP_3)
	v_add_f16_e32 v3, v3, v13
	v_add_f16_e32 v2, v2, v11
	s_delay_alu instid0(VALU_DEP_1)
	v_pack_b32_f16 v49, v2, v3
	ds_load_2addr_b32 v[2:3], v184 offset0:14 offset1:149
	ds_load_2addr_b32 v[4:5], v153 offset0:28 offset1:163
	;; [unrolled: 1-line block ×4, first 2 shown]
	s_waitcnt lgkmcnt(0)
	s_barrier
	buffer_gl0_inv
	ds_store_b32 v175, v47 offset:1800
	ds_store_b32 v175, v0 offset:3600
	ds_store_2addr_b32 v175, v46, v49 offset1:135
	v_add_f16_e32 v0, v10, v11
	s_delay_alu instid0(VALU_DEP_1) | instskip(SKIP_3) | instid1(VALU_DEP_3)
	v_fmac_f16_e32 v1, -0.5, v0
	v_add_f16_e32 v0, v12, v13
	v_sub_f16_e32 v12, v12, v13
	v_add_f16_e32 v13, v15, v17
	v_fmac_f16_e32 v48, -0.5, v0
	v_sub_f16_e32 v0, v10, v11
	s_delay_alu instid0(VALU_DEP_4) | instskip(SKIP_1) | instid1(VALU_DEP_3)
	v_fmamk_f16 v10, v12, 0xbaee, v1
	v_fmac_f16_e32 v1, 0x3aee, v12
	v_fmamk_f16 v11, v0, 0x3aee, v48
	v_fmac_f16_e32 v48, 0xbaee, v0
	s_delay_alu instid0(VALU_DEP_2) | instskip(NEXT) | instid1(VALU_DEP_2)
	v_pack_b32_f16 v10, v10, v11
	v_pack_b32_f16 v0, v1, v48
	v_lshrrev_b32_e32 v1, 16, v2
	s_delay_alu instid0(VALU_DEP_1) | instskip(SKIP_3) | instid1(VALU_DEP_4)
	v_add_f16_e32 v12, v1, v15
	v_sub_f16_e32 v15, v15, v17
	v_fmac_f16_e32 v1, -0.5, v13
	v_add_f16_e32 v13, v2, v14
	v_add_f16_e32 v12, v12, v17
	;; [unrolled: 1-line block ×3, first 2 shown]
	v_sub_f16_e32 v14, v14, v16
	s_delay_alu instid0(VALU_DEP_4) | instskip(NEXT) | instid1(VALU_DEP_3)
	v_add_f16_e32 v13, v13, v16
	v_fma_f16 v2, -0.5, v17, v2
	s_delay_alu instid0(VALU_DEP_2) | instskip(NEXT) | instid1(VALU_DEP_4)
	v_pack_b32_f16 v11, v13, v12
	v_fmamk_f16 v13, v14, 0x3aee, v1
	v_fmac_f16_e32 v1, 0xbaee, v14
	s_delay_alu instid0(VALU_DEP_4) | instskip(SKIP_1) | instid1(VALU_DEP_2)
	v_fmamk_f16 v12, v15, 0xbaee, v2
	v_fmac_f16_e32 v2, 0x3aee, v15
	v_pack_b32_f16 v12, v12, v13
	s_delay_alu instid0(VALU_DEP_2)
	v_pack_b32_f16 v1, v2, v1
	ds_store_b32 v175, v11 offset:1080
	ds_store_2addr_b32 v153, v10, v12 offset0:73 offset1:208
	v_add_f16_e32 v2, v3, v18
	ds_store_2addr_b32 v182, v0, v1 offset0:11 offset1:146
	v_add_f16_e32 v0, v18, v19
	v_lshrrev_b32_e32 v1, 16, v3
	v_add_f16_e32 v13, v5, v26
	s_delay_alu instid0(VALU_DEP_3) | instskip(SKIP_1) | instid1(VALU_DEP_4)
	v_fmac_f16_e32 v3, -0.5, v0
	v_sub_f16_e32 v0, v20, v21
	v_add_f16_e32 v11, v1, v20
	s_delay_alu instid0(VALU_DEP_2) | instskip(SKIP_2) | instid1(VALU_DEP_1)
	v_fmamk_f16 v10, v0, 0xbaee, v3
	v_fmac_f16_e32 v3, 0x3aee, v0
	v_add_f16_e32 v0, v20, v21
	v_fmac_f16_e32 v1, -0.5, v0
	v_sub_f16_e32 v0, v18, v19
	s_delay_alu instid0(VALU_DEP_1) | instskip(SKIP_1) | instid1(VALU_DEP_1)
	v_fmamk_f16 v12, v0, 0x3aee, v1
	v_fmac_f16_e32 v1, 0xbaee, v0
	v_pack_b32_f16 v0, v3, v1
	v_add_f16_e32 v1, v2, v19
	v_add_f16_e32 v2, v11, v21
	;; [unrolled: 1-line block ×3, first 2 shown]
	s_delay_alu instid0(VALU_DEP_2)
	v_pack_b32_f16 v1, v1, v2
	v_pack_b32_f16 v2, v10, v12
	ds_store_b32 v215, v1
	ds_store_b32 v215, v2 offset:1800
	ds_store_b32 v215, v0 offset:3600
	v_add_f16_e32 v0, v22, v24
	v_sub_f16_e32 v1, v23, v25
	v_lshrrev_b32_e32 v12, 16, v5
	s_delay_alu instid0(VALU_DEP_3) | instskip(NEXT) | instid1(VALU_DEP_2)
	v_fma_f16 v0, -0.5, v0, v4
	v_add_f16_e32 v15, v12, v28
	s_delay_alu instid0(VALU_DEP_2) | instskip(SKIP_2) | instid1(VALU_DEP_1)
	v_fmamk_f16 v2, v1, 0xbaee, v0
	v_fmac_f16_e32 v0, 0x3aee, v1
	v_lshrrev_b32_e32 v1, 16, v4
	v_add_f16_e32 v10, v1, v23
	v_fmac_f16_e32 v1, -0.5, v3
	v_sub_f16_e32 v3, v22, v24
	s_delay_alu instid0(VALU_DEP_1) | instskip(SKIP_2) | instid1(VALU_DEP_2)
	v_fmamk_f16 v11, v3, 0x3aee, v1
	v_fmac_f16_e32 v1, 0xbaee, v3
	v_add_f16_e32 v3, v26, v27
	v_pack_b32_f16 v0, v0, v1
	s_delay_alu instid0(VALU_DEP_2) | instskip(SKIP_1) | instid1(VALU_DEP_1)
	v_fmac_f16_e32 v5, -0.5, v3
	v_sub_f16_e32 v3, v28, v29
	v_fmamk_f16 v14, v3, 0xbaee, v5
	v_fmac_f16_e32 v5, 0x3aee, v3
	v_add_f16_e32 v3, v28, v29
	s_delay_alu instid0(VALU_DEP_1) | instskip(SKIP_1) | instid1(VALU_DEP_1)
	v_fmac_f16_e32 v12, -0.5, v3
	v_sub_f16_e32 v3, v26, v27
	v_fmamk_f16 v16, v3, 0x3aee, v12
	v_fmac_f16_e32 v12, 0xbaee, v3
	v_add_nc_u32_e32 v3, 0x2400, v175
	s_delay_alu instid0(VALU_DEP_2)
	v_pack_b32_f16 v1, v5, v12
	v_sub_f16_e32 v5, v31, v33
	ds_store_2addr_b32 v3, v0, v1 offset0:36 offset1:171
	v_add_f16_e32 v0, v4, v22
	v_add_f16_e32 v1, v10, v25
	;; [unrolled: 1-line block ×4, first 2 shown]
	v_sub_f16_e32 v10, v39, v41
	v_add_f16_e32 v0, v0, v24
	s_delay_alu instid0(VALU_DEP_1) | instskip(NEXT) | instid1(VALU_DEP_4)
	v_pack_b32_f16 v0, v0, v1
	v_pack_b32_f16 v1, v3, v4
	v_add_f16_e32 v3, v30, v32
	v_sub_f16_e32 v4, v30, v32
	ds_store_2addr_b32 v216, v0, v1 offset0:32 offset1:167
	v_pack_b32_f16 v0, v2, v11
	v_pack_b32_f16 v1, v14, v16
	v_fma_f16 v3, -0.5, v3, v6
	ds_store_2addr_b32 v178, v0, v1 offset0:98 offset1:233
	v_lshrrev_b32_e32 v0, 16, v6
	v_add_f16_e32 v1, v31, v33
	s_delay_alu instid0(VALU_DEP_2) | instskip(NEXT) | instid1(VALU_DEP_2)
	v_add_f16_e32 v2, v0, v31
	v_fmac_f16_e32 v0, -0.5, v1
	v_add_f16_e32 v1, v6, v30
	v_fmamk_f16 v6, v5, 0xbaee, v3
	v_fmac_f16_e32 v3, 0x3aee, v5
	v_add_f16_e32 v2, v2, v33
	v_fmamk_f16 v5, v4, 0x3aee, v0
	v_add_f16_e32 v1, v1, v32
	v_fmac_f16_e32 v0, 0xbaee, v4
	s_delay_alu instid0(VALU_DEP_2) | instskip(NEXT) | instid1(VALU_DEP_4)
	v_pack_b32_f16 v1, v1, v2
	v_pack_b32_f16 v2, v6, v5
	s_delay_alu instid0(VALU_DEP_3)
	v_pack_b32_f16 v0, v3, v0
	ds_store_b32 v243, v1
	ds_store_b32 v243, v2 offset:1800
	ds_store_b32 v243, v0 offset:3600
	v_add_f16_e32 v0, v34, v35
	v_lshrrev_b32_e32 v1, 16, v7
	v_add_f16_e32 v2, v7, v34
	v_lshrrev_b32_e32 v6, 16, v8
	s_delay_alu instid0(VALU_DEP_4) | instskip(SKIP_2) | instid1(VALU_DEP_2)
	v_fmac_f16_e32 v7, -0.5, v0
	v_sub_f16_e32 v0, v36, v37
	v_add_f16_e32 v4, v1, v36
	v_fmamk_f16 v3, v0, 0xbaee, v7
	v_fmac_f16_e32 v7, 0x3aee, v0
	v_add_f16_e32 v0, v36, v37
	s_delay_alu instid0(VALU_DEP_1) | instskip(SKIP_1) | instid1(VALU_DEP_1)
	v_fmac_f16_e32 v1, -0.5, v0
	v_sub_f16_e32 v0, v34, v35
	v_fmamk_f16 v5, v0, 0x3aee, v1
	v_fmac_f16_e32 v1, 0xbaee, v0
	s_delay_alu instid0(VALU_DEP_1) | instskip(SKIP_3) | instid1(VALU_DEP_2)
	v_pack_b32_f16 v0, v7, v1
	v_add_f16_e32 v1, v2, v35
	v_add_f16_e32 v2, v4, v37
	v_add_f16_e32 v7, v8, v38
	v_pack_b32_f16 v1, v1, v2
	v_pack_b32_f16 v2, v3, v5
	ds_store_b32 v234, v1 offset:10800
	ds_store_b32 v234, v2 offset:12600
	;; [unrolled: 1-line block ×3, first 2 shown]
	v_add_f16_e32 v0, v42, v43
	v_lshrrev_b32_e32 v1, 16, v9
	v_add_f16_e32 v2, v9, v42
	v_add_f16_e32 v7, v7, v40
	s_delay_alu instid0(VALU_DEP_4) | instskip(SKIP_2) | instid1(VALU_DEP_2)
	v_fmac_f16_e32 v9, -0.5, v0
	v_sub_f16_e32 v0, v44, v45
	v_add_f16_e32 v4, v1, v44
	v_fmamk_f16 v3, v0, 0xbaee, v9
	v_fmac_f16_e32 v9, 0x3aee, v0
	v_add_f16_e32 v0, v44, v45
	s_delay_alu instid0(VALU_DEP_1) | instskip(SKIP_1) | instid1(VALU_DEP_1)
	v_fmac_f16_e32 v1, -0.5, v0
	v_sub_f16_e32 v0, v42, v43
	v_fmamk_f16 v5, v0, 0x3aee, v1
	v_fmac_f16_e32 v1, 0xbaee, v0
	v_add_f16_e32 v0, v38, v40
	s_delay_alu instid0(VALU_DEP_2) | instskip(NEXT) | instid1(VALU_DEP_2)
	v_pack_b32_f16 v1, v9, v1
	v_fma_f16 v0, -0.5, v0, v8
	v_add_f16_e32 v8, v39, v41
	v_add_f16_e32 v9, v6, v39
	s_delay_alu instid0(VALU_DEP_3) | instskip(NEXT) | instid1(VALU_DEP_3)
	v_fmamk_f16 v11, v10, 0xbaee, v0
	v_fmac_f16_e32 v6, -0.5, v8
	v_sub_f16_e32 v8, v38, v40
	s_delay_alu instid0(VALU_DEP_4) | instskip(SKIP_1) | instid1(VALU_DEP_3)
	v_add_f16_e32 v9, v9, v41
	v_fmac_f16_e32 v0, 0x3aee, v10
	v_fmamk_f16 v10, v8, 0x3aee, v6
	v_fmac_f16_e32 v6, 0xbaee, v8
	s_delay_alu instid0(VALU_DEP_4) | instskip(NEXT) | instid1(VALU_DEP_3)
	v_pack_b32_f16 v7, v7, v9
	v_pack_b32_f16 v8, v11, v10
	s_delay_alu instid0(VALU_DEP_3)
	v_pack_b32_f16 v0, v0, v6
	ds_store_b32 v225, v7 offset:10800
	ds_store_b32 v225, v8 offset:12600
	;; [unrolled: 1-line block ×3, first 2 shown]
	v_add_f16_e32 v0, v2, v43
	v_add_f16_e32 v2, v4, v45
	s_delay_alu instid0(VALU_DEP_1)
	v_pack_b32_f16 v0, v0, v2
	v_pack_b32_f16 v2, v3, v5
	ds_store_b32 v226, v0 offset:10800
	ds_store_b32 v226, v2 offset:12600
	;; [unrolled: 1-line block ×3, first 2 shown]
	s_waitcnt lgkmcnt(0)
	s_barrier
	buffer_gl0_inv
	ds_load_2addr_b32 v[0:1], v212 offset0:70 offset1:205
	ds_load_2addr_b32 v[29:30], v175 offset1:135
	s_waitcnt lgkmcnt(1)
	v_lshrrev_b32_e32 v2, 16, v0
	v_mul_f16_e64 v3, v191, v0
	s_waitcnt lgkmcnt(0)
	v_lshrrev_b32_e32 v48, 16, v30
	s_delay_alu instid0(VALU_DEP_3) | instskip(NEXT) | instid1(VALU_DEP_3)
	v_mul_f16_e64 v24, v191, v2
	v_fma_f16 v31, v143, v2, -v3
	ds_load_2addr_b32 v[2:3], v174 offset0:12 offset1:147
	v_fmac_f16_e64 v24, v143, v0
	v_lshrrev_b32_e32 v0, 16, v1
	s_delay_alu instid0(VALU_DEP_1) | instskip(NEXT) | instid1(VALU_DEP_1)
	v_mul_f16_e64 v35, v176, v0
	v_fmac_f16_e32 v35, v91, v1
	v_mul_f16_e64 v1, v176, v1
	s_waitcnt lgkmcnt(0)
	v_lshrrev_b32_e32 v4, 16, v2
	s_delay_alu instid0(VALU_DEP_2) | instskip(SKIP_3) | instid1(VALU_DEP_2)
	v_fma_f16 v37, v91, v0, -v1
	ds_load_2addr_b32 v[0:1], v180 offset0:84 offset1:219
	v_mul_f16_e64 v5, v217, v2
	v_mul_f16_e64 v32, v217, v4
	v_fma_f16 v33, v144, v4, -v5
	v_mul_f16_e64 v4, v207, v3
	s_delay_alu instid0(VALU_DEP_3) | instskip(SKIP_1) | instid1(VALU_DEP_1)
	v_fmac_f16_e64 v32, v144, v2
	v_lshrrev_b32_e32 v2, 16, v3
	v_mul_f16_e64 v36, v207, v2
	s_delay_alu instid0(VALU_DEP_4) | instskip(NEXT) | instid1(VALU_DEP_2)
	v_fma_f16 v38, v92, v2, -v4
	v_fmac_f16_e32 v36, v92, v3
	s_waitcnt lgkmcnt(0)
	v_lshrrev_b32_e32 v2, 16, v0
	v_mul_f16_e64 v3, v165, v0
	s_delay_alu instid0(VALU_DEP_2) | instskip(NEXT) | instid1(VALU_DEP_2)
	v_mul_f16_e64 v16, v165, v2
	v_fma_f16 v39, v89, v2, -v3
	ds_load_2addr_b32 v[2:3], v179 offset0:26 offset1:161
	v_fmac_f16_e32 v16, v89, v0
	v_lshrrev_b32_e32 v0, 16, v1
	s_delay_alu instid0(VALU_DEP_1) | instskip(NEXT) | instid1(VALU_DEP_1)
	v_mul_f16_e64 v20, v160, v0
	v_fmac_f16_e32 v20, v87, v1
	v_mul_f16_e64 v1, v160, v1
	s_waitcnt lgkmcnt(0)
	v_lshrrev_b32_e32 v4, 16, v2
	s_delay_alu instid0(VALU_DEP_2) | instskip(SKIP_3) | instid1(VALU_DEP_2)
	v_fma_f16 v40, v87, v0, -v1
	ds_load_2addr_b32 v[0:1], v178 offset0:98 offset1:233
	v_mul_f16_e64 v5, v166, v2
	v_mul_f16_e64 v21, v166, v4
	v_fma_f16 v23, v90, v4, -v5
	v_mul_f16_e64 v4, v164, v3
	s_delay_alu instid0(VALU_DEP_3) | instskip(SKIP_1) | instid1(VALU_DEP_1)
	v_fmac_f16_e32 v21, v90, v2
	v_lshrrev_b32_e32 v2, 16, v3
	v_mul_f16_e64 v25, v164, v2
	s_delay_alu instid0(VALU_DEP_4) | instskip(NEXT) | instid1(VALU_DEP_2)
	v_fma_f16 v41, v88, v2, -v4
	v_fmac_f16_e32 v25, v88, v3
	s_waitcnt lgkmcnt(0)
	v_lshrrev_b32_e32 v2, 16, v0
	v_mul_f16_e32 v3, v98, v0
	s_delay_alu instid0(VALU_DEP_2) | instskip(NEXT) | instid1(VALU_DEP_2)
	v_mul_f16_e32 v17, v98, v2
	v_fma_f16 v42, v101, v2, -v3
	ds_load_2addr_b32 v[2:3], v170 offset0:40 offset1:175
	v_fmac_f16_e32 v17, v101, v0
	v_lshrrev_b32_e32 v0, 16, v1
	s_delay_alu instid0(VALU_DEP_1) | instskip(NEXT) | instid1(VALU_DEP_1)
	v_mul_f16_e64 v27, v136, v0
	v_fmac_f16_e32 v27, v99, v1
	v_mul_f16_e64 v1, v136, v1
	s_waitcnt lgkmcnt(0)
	v_lshrrev_b32_e32 v4, 16, v2
	s_delay_alu instid0(VALU_DEP_2) | instskip(SKIP_3) | instid1(VALU_DEP_2)
	v_fma_f16 v43, v99, v0, -v1
	ds_load_2addr_b32 v[0:1], v189 offset0:112 offset1:247
	v_mul_f16_e64 v5, v155, v2
	v_mul_f16_e64 v18, v155, v4
	v_fma_f16 v19, v102, v4, -v5
	v_mul_f16_e64 v4, v137, v3
	s_delay_alu instid0(VALU_DEP_3) | instskip(SKIP_1) | instid1(VALU_DEP_1)
	v_fmac_f16_e32 v18, v102, v2
	v_lshrrev_b32_e32 v2, 16, v3
	v_mul_f16_e64 v26, v137, v2
	s_delay_alu instid0(VALU_DEP_4) | instskip(NEXT) | instid1(VALU_DEP_2)
	v_fma_f16 v44, v100, v2, -v4
	v_fmac_f16_e32 v26, v100, v3
	s_waitcnt lgkmcnt(0)
	v_lshrrev_b32_e32 v2, 16, v0
	v_mul_f16_e64 v3, v134, v0
	s_delay_alu instid0(VALU_DEP_2) | instskip(NEXT) | instid1(VALU_DEP_2)
	v_mul_f16_e64 v4, v134, v2
	v_fma_f16 v28, v150, v2, -v3
	ds_load_2addr_b32 v[2:3], v167 offset0:54 offset1:189
	v_fmac_f16_e64 v4, v150, v0
	v_lshrrev_b32_e32 v0, 16, v1
	s_delay_alu instid0(VALU_DEP_1) | instskip(NEXT) | instid1(VALU_DEP_1)
	v_mul_f16_e64 v22, v130, v0
	v_fmac_f16_e64 v22, v148, v1
	v_mul_f16_e64 v1, v130, v1
	s_waitcnt lgkmcnt(0)
	v_lshrrev_b32_e32 v6, 16, v2
	s_delay_alu instid0(VALU_DEP_2) | instskip(SKIP_4) | instid1(VALU_DEP_3)
	v_fma_f16 v45, v148, v0, -v1
	ds_load_2addr_b32 v[0:1], v171 offset0:62 offset1:197
	v_mul_f16_e64 v7, v135, v2
	v_mul_f16_e64 v8, v141, v3
	;; [unrolled: 1-line block ×3, first 2 shown]
	v_fma_f16 v6, v151, v6, -v7
	s_delay_alu instid0(VALU_DEP_2) | instskip(SKIP_1) | instid1(VALU_DEP_1)
	v_fmac_f16_e64 v5, v151, v2
	v_lshrrev_b32_e32 v2, 16, v3
	v_mul_f16_e64 v7, v141, v2
	v_fma_f16 v11, v149, v2, -v8
	s_delay_alu instid0(VALU_DEP_2) | instskip(SKIP_3) | instid1(VALU_DEP_2)
	v_fmac_f16_e64 v7, v149, v3
	s_waitcnt lgkmcnt(0)
	v_lshrrev_b32_e32 v2, 16, v0
	v_mul_f16_e32 v3, v119, v0
	v_mul_f16_e32 v9, v119, v2
	s_delay_alu instid0(VALU_DEP_2) | instskip(SKIP_3) | instid1(VALU_DEP_1)
	v_fma_f16 v46, v105, v2, -v3
	ds_load_2addr_b32 v[2:3], v156 offset0:68 offset1:203
	v_fmac_f16_e32 v9, v105, v0
	v_lshrrev_b32_e32 v0, 16, v1
	v_mul_f16_e32 v13, v93, v0
	s_delay_alu instid0(VALU_DEP_1)
	v_fmac_f16_e32 v13, v103, v1
	v_mul_f16_e32 v1, v93, v1
	s_waitcnt lgkmcnt(0)
	v_lshrrev_b32_e32 v10, 16, v2
	v_mul_f16_e64 v12, v129, v2
	v_mul_f16_e32 v14, v118, v3
	v_fma_f16 v15, v103, v0, -v1
	v_lshrrev_b32_e32 v0, 16, v29
	v_mul_f16_e64 v8, v129, v10
	v_fma_f16 v10, v106, v10, -v12
	v_add_f16_e32 v1, v31, v33
	s_delay_alu instid0(VALU_DEP_3) | instskip(SKIP_1) | instid1(VALU_DEP_1)
	v_fmac_f16_e32 v8, v106, v2
	v_lshrrev_b32_e32 v2, 16, v3
	v_mul_f16_e32 v12, v118, v2
	v_fma_f16 v14, v104, v2, -v14
	v_add_f16_e32 v2, v0, v31
	v_fmac_f16_e32 v0, -0.5, v1
	v_add_f16_e32 v1, v29, v24
	v_fmac_f16_e32 v12, v104, v3
	v_add_f16_e32 v3, v24, v32
	v_sub_f16_e32 v24, v24, v32
	v_add_f16_e32 v2, v2, v33
	v_add_f16_e32 v1, v1, v32
	s_delay_alu instid0(VALU_DEP_4) | instskip(SKIP_1) | instid1(VALU_DEP_1)
	v_fma_f16 v3, -0.5, v3, v29
	v_sub_f16_e32 v29, v31, v33
	v_fmamk_f16 v31, v29, 0xbaee, v3
	v_fmac_f16_e32 v3, 0x3aee, v29
	v_fmamk_f16 v29, v24, 0x3aee, v0
	v_fmac_f16_e32 v0, 0xbaee, v24
	v_pack_b32_f16 v24, v1, v2
	v_add_f16_e32 v1, v48, v37
	s_delay_alu instid0(VALU_DEP_4) | instskip(NEXT) | instid1(VALU_DEP_4)
	v_pack_b32_f16 v29, v31, v29
	v_pack_b32_f16 v47, v3, v0
	v_add_f16_e32 v0, v30, v35
	s_delay_alu instid0(VALU_DEP_4) | instskip(NEXT) | instid1(VALU_DEP_2)
	v_add_f16_e32 v1, v1, v38
	v_add_f16_e32 v0, v0, v36
	s_delay_alu instid0(VALU_DEP_1)
	v_pack_b32_f16 v49, v0, v1
	ds_load_2addr_b32 v[31:32], v184 offset0:14 offset1:149
	ds_load_2addr_b32 v[33:34], v153 offset0:28 offset1:163
	;; [unrolled: 1-line block ×4, first 2 shown]
	ds_store_b32 v175, v29 offset:5400
	ds_store_b32 v175, v47 offset:10800
	ds_store_2addr_b32 v175, v24, v49 offset1:135
	v_add_f16_e32 v24, v35, v36
	v_sub_f16_e32 v29, v37, v38
	v_sub_f16_e32 v47, v16, v21
	s_delay_alu instid0(VALU_DEP_3) | instskip(SKIP_1) | instid1(VALU_DEP_1)
	v_fmac_f16_e32 v30, -0.5, v24
	v_add_f16_e32 v24, v37, v38
	v_fmac_f16_e32 v48, -0.5, v24
	v_sub_f16_e32 v24, v35, v36
	v_add_f16_e32 v36, v39, v23
	s_waitcnt lgkmcnt(6)
	v_lshrrev_b32_e32 v35, 16, v31
	s_delay_alu instid0(VALU_DEP_3) | instskip(SKIP_1) | instid1(VALU_DEP_3)
	v_fmamk_f16 v38, v24, 0x3aee, v48
	v_fmac_f16_e32 v48, 0xbaee, v24
	v_add_f16_e32 v37, v35, v39
	v_fmac_f16_e32 v35, -0.5, v36
	v_fmamk_f16 v36, v29, 0xbaee, v30
	v_sub_f16_e32 v39, v39, v23
	v_fmac_f16_e32 v30, 0x3aee, v29
	s_delay_alu instid0(VALU_DEP_4) | instskip(NEXT) | instid1(VALU_DEP_4)
	v_fmamk_f16 v50, v47, 0x3aee, v35
	v_pack_b32_f16 v36, v36, v38
	v_add_f16_e32 v38, v16, v21
	v_fmac_f16_e32 v35, 0xbaee, v47
	v_add_f16_e32 v16, v31, v16
	v_pack_b32_f16 v24, v30, v48
	v_add_nc_u32_e32 v30, 0x2c00, v175
	v_fma_f16 v38, -0.5, v38, v31
	v_sub_f16_e32 v31, v17, v18
	v_add_f16_e32 v16, v16, v21
	v_add_f16_e32 v21, v37, v23
	v_lshrrev_b32_e32 v23, 16, v32
	v_fmamk_f16 v49, v39, 0xbaee, v38
	v_fmac_f16_e32 v38, 0x3aee, v39
	s_delay_alu instid0(VALU_DEP_4) | instskip(SKIP_1) | instid1(VALU_DEP_4)
	v_pack_b32_f16 v16, v16, v21
	v_add_f16_e32 v21, v32, v20
	v_pack_b32_f16 v49, v49, v50
	s_delay_alu instid0(VALU_DEP_4) | instskip(NEXT) | instid1(VALU_DEP_3)
	v_pack_b32_f16 v29, v38, v35
	v_add_f16_e32 v21, v21, v25
	ds_store_2addr_b32 v216, v36, v49 offset0:77 offset1:212
	ds_store_2addr_b32 v30, v24, v29 offset0:19 offset1:154
	v_add_f16_e32 v24, v23, v40
	v_sub_f16_e32 v30, v42, v19
	s_delay_alu instid0(VALU_DEP_2) | instskip(NEXT) | instid1(VALU_DEP_1)
	v_add_f16_e32 v24, v24, v41
	v_pack_b32_f16 v21, v21, v24
	v_add_f16_e32 v24, v42, v19
	ds_store_2addr_b32 v184, v16, v21 offset0:14 offset1:149
	v_add_f16_e32 v16, v20, v25
	v_sub_f16_e32 v21, v40, v41
	s_delay_alu instid0(VALU_DEP_2) | instskip(SKIP_1) | instid1(VALU_DEP_1)
	v_fmac_f16_e32 v32, -0.5, v16
	v_add_f16_e32 v16, v40, v41
	v_fmac_f16_e32 v23, -0.5, v16
	v_sub_f16_e32 v16, v20, v25
	s_waitcnt lgkmcnt(8)
	v_lshrrev_b32_e32 v20, 16, v33
	s_delay_alu instid0(VALU_DEP_2) | instskip(NEXT) | instid1(VALU_DEP_2)
	v_fmamk_f16 v29, v16, 0x3aee, v23
	v_add_f16_e32 v25, v20, v42
	v_fmac_f16_e32 v20, -0.5, v24
	v_fmamk_f16 v24, v21, 0xbaee, v32
	v_fmac_f16_e32 v32, 0x3aee, v21
	v_fmac_f16_e32 v23, 0xbaee, v16
	v_add_nc_u32_e32 v21, 0x3000, v175
	v_fmamk_f16 v36, v31, 0x3aee, v20
	v_pack_b32_f16 v24, v24, v29
	v_add_f16_e32 v29, v17, v18
	v_fmac_f16_e32 v20, 0xbaee, v31
	v_pack_b32_f16 v16, v32, v23
	s_delay_alu instid0(VALU_DEP_3) | instskip(NEXT) | instid1(VALU_DEP_1)
	v_fma_f16 v29, -0.5, v29, v33
	v_fmamk_f16 v35, v30, 0xbaee, v29
	v_fmac_f16_e32 v29, 0x3aee, v30
	v_sub_f16_e32 v30, v22, v7
	s_delay_alu instid0(VALU_DEP_3) | instskip(NEXT) | instid1(VALU_DEP_3)
	v_pack_b32_f16 v35, v35, v36
	v_pack_b32_f16 v20, v29, v20
	v_add_nc_u32_e32 v36, 0x1a00, v175
	v_sub_f16_e32 v29, v45, v11
	ds_store_2addr_b32 v21, v16, v20 offset0:33 offset1:168
	v_add_f16_e32 v16, v27, v26
	v_lshrrev_b32_e32 v20, 16, v34
	v_add_f16_e32 v21, v34, v27
	ds_store_2addr_b32 v36, v24, v35 offset0:91 offset1:226
	scratch_load_b64 v[35:36], off, off offset:216 ; 8-byte Folded Reload
	v_fmac_f16_e32 v34, -0.5, v16
	v_add_f16_e32 v16, v43, v44
	v_add_f16_e32 v23, v20, v43
	s_delay_alu instid0(VALU_DEP_2) | instskip(SKIP_1) | instid1(VALU_DEP_1)
	v_fmac_f16_e32 v20, -0.5, v16
	v_sub_f16_e32 v16, v43, v44
	v_fmamk_f16 v24, v16, 0xbaee, v34
	v_fmac_f16_e32 v34, 0x3aee, v16
	v_sub_f16_e32 v16, v27, v26
	s_delay_alu instid0(VALU_DEP_1) | instskip(SKIP_4) | instid1(VALU_DEP_4)
	v_fmamk_f16 v27, v16, 0x3aee, v20
	v_fmac_f16_e32 v20, 0xbaee, v16
	v_add_f16_e32 v16, v33, v17
	v_add_f16_e32 v17, v25, v19
	;; [unrolled: 1-line block ×3, first 2 shown]
	v_pack_b32_f16 v20, v34, v20
	s_delay_alu instid0(VALU_DEP_4)
	v_add_f16_e32 v16, v16, v18
	v_add_f16_e32 v18, v21, v26
	v_pack_b32_f16 v21, v24, v27
	s_waitcnt lgkmcnt(9)
	v_lshrrev_b32_e32 v26, 16, v3
	v_add_f16_e32 v27, v3, v22
	v_pack_b32_f16 v16, v16, v17
	v_pack_b32_f16 v17, v18, v19
	v_sub_f16_e32 v18, v28, v6
	v_sub_f16_e32 v19, v4, v5
	ds_store_2addr_b32 v153, v16, v17 offset0:28 offset1:163
	v_lshrrev_b32_e32 v16, 16, v2
	v_add_f16_e32 v17, v28, v6
	ds_store_b32 v175, v20 offset:13500
	v_add_nc_u32_e32 v20, 0x1e00, v175
	v_add_f16_e32 v25, v16, v28
	v_fmac_f16_e32 v16, -0.5, v17
	v_add_f16_e32 v17, v4, v5
	v_add_f16_e32 v28, v26, v45
	s_delay_alu instid0(VALU_DEP_3) | instskip(NEXT) | instid1(VALU_DEP_3)
	v_fmamk_f16 v24, v19, 0x3aee, v16
	v_fma_f16 v17, -0.5, v17, v2
	v_add_f16_e32 v2, v2, v4
	v_add_f16_e32 v4, v25, v6
	v_add_f16_e32 v6, v28, v11
	v_fmac_f16_e32 v16, 0xbaee, v19
	v_fmamk_f16 v23, v18, 0xbaee, v17
	v_add_f16_e32 v2, v2, v5
	v_add_f16_e32 v5, v27, v7
	v_fmac_f16_e32 v17, 0x3aee, v18
	s_delay_alu instid0(VALU_DEP_4) | instskip(NEXT) | instid1(VALU_DEP_4)
	v_pack_b32_f16 v23, v23, v24
	v_pack_b32_f16 v2, v2, v4
	s_delay_alu instid0(VALU_DEP_4)
	v_pack_b32_f16 v4, v5, v6
	s_waitcnt lgkmcnt(10)
	v_add_f16_e32 v5, v1, v13
	v_sub_f16_e32 v24, v9, v8
	ds_store_2addr_b32 v20, v21, v23 offset0:105 offset1:240
	v_add_f16_e32 v20, v22, v7
	v_add_f16_e32 v23, v46, v10
	ds_store_2addr_b32 v183, v2, v4 offset0:42 offset1:177
	v_lshrrev_b32_e32 v4, 16, v1
	v_fmac_f16_e32 v3, -0.5, v20
	v_add_f16_e32 v20, v45, v11
	s_delay_alu instid0(VALU_DEP_3) | instskip(NEXT) | instid1(VALU_DEP_3)
	v_add_f16_e32 v6, v4, v15
	v_fmamk_f16 v22, v29, 0xbaee, v3
	s_delay_alu instid0(VALU_DEP_3) | instskip(SKIP_2) | instid1(VALU_DEP_2)
	v_fmac_f16_e32 v26, -0.5, v20
	v_lshrrev_b32_e32 v20, 16, v0
	v_fmac_f16_e32 v3, 0x3aee, v29
	v_add_f16_e32 v21, v20, v46
	v_fmac_f16_e32 v20, -0.5, v23
	v_fmamk_f16 v23, v30, 0x3aee, v26
	v_fmac_f16_e32 v26, 0xbaee, v30
	s_delay_alu instid0(VALU_DEP_3) | instskip(NEXT) | instid1(VALU_DEP_3)
	v_fmamk_f16 v33, v24, 0x3aee, v20
	v_pack_b32_f16 v31, v22, v23
	s_delay_alu instid0(VALU_DEP_3) | instskip(SKIP_4) | instid1(VALU_DEP_4)
	v_pack_b32_f16 v2, v3, v26
	v_add_f16_e32 v3, v13, v12
	v_add_f16_e32 v22, v9, v8
	v_sub_f16_e32 v23, v46, v10
	v_fmac_f16_e32 v20, 0xbaee, v24
	v_fmac_f16_e32 v1, -0.5, v3
	v_add_f16_e32 v3, v15, v14
	v_fma_f16 v22, -0.5, v22, v0
	v_add_f16_e32 v0, v0, v9
	s_delay_alu instid0(VALU_DEP_3) | instskip(SKIP_1) | instid1(VALU_DEP_3)
	v_fmac_f16_e32 v4, -0.5, v3
	v_sub_f16_e32 v3, v15, v14
	v_add_f16_e32 v0, v0, v8
	v_fmamk_f16 v32, v23, 0xbaee, v22
	v_fmac_f16_e32 v22, 0x3aee, v23
	s_delay_alu instid0(VALU_DEP_4) | instskip(SKIP_4) | instid1(VALU_DEP_3)
	v_fmamk_f16 v7, v3, 0xbaee, v1
	v_fmac_f16_e32 v1, 0x3aee, v3
	v_sub_f16_e32 v3, v13, v12
	v_pack_b32_f16 v32, v32, v33
	v_add_nc_u32_e32 v33, 0x2200, v175
	v_fmamk_f16 v11, v3, 0x3aee, v4
	v_fmac_f16_e32 v4, 0xbaee, v3
	v_pack_b32_f16 v3, v17, v16
	ds_store_2addr_b32 v33, v31, v32 offset0:119 offset1:254
	v_pack_b32_f16 v1, v1, v4
	ds_store_2addr_b32 v167, v3, v2 offset0:54 offset1:189
	v_add_f16_e32 v2, v21, v10
	v_add_f16_e32 v3, v5, v12
	;; [unrolled: 1-line block ×3, first 2 shown]
	s_delay_alu instid0(VALU_DEP_3) | instskip(NEXT) | instid1(VALU_DEP_2)
	v_pack_b32_f16 v0, v0, v2
	v_pack_b32_f16 v2, v3, v4
	ds_store_2addr_b32 v182, v0, v2 offset0:56 offset1:191
	v_pack_b32_f16 v0, v22, v20
	ds_store_2addr_b32 v156, v0, v1 offset0:68 offset1:203
	v_pack_b32_f16 v0, v7, v11
	ds_store_b32 v175, v0 offset:10260
	s_waitcnt vmcnt(0) lgkmcnt(0)
	s_barrier
	buffer_gl0_inv
	s_clause 0x3
	scratch_load_b32 v23, off, off offset:240
	scratch_load_b32 v24, off, off offset:244
	;; [unrolled: 1-line block ×4, first 2 shown]
	ds_load_2addr_b32 v[1:2], v175 offset1:135
	ds_load_2addr_b32 v[8:9], v184 offset0:14 offset1:149
	s_clause 0x5
	scratch_load_b32 v30, off, off offset:200
	scratch_load_b32 v37, off, off offset:180
	;; [unrolled: 1-line block ×6, first 2 shown]
	s_waitcnt lgkmcnt(1)
	v_lshrrev_b32_e32 v0, 16, v1
	s_waitcnt lgkmcnt(0)
	v_lshrrev_b32_e32 v16, 16, v9
	v_mad_u64_u32 v[31:32], null, s10, v35, 0
	s_delay_alu instid0(VALU_DEP_1) | instskip(SKIP_2) | instid1(VALU_DEP_1)
	v_mad_u64_u32 v[33:34], null, s11, v35, v[32:33]
	s_mov_b32 s10, 0xc0898b71
	s_mov_b32 s11, 0x3f302e85
	v_mov_b32_e32 v32, v33
	v_mad_u64_u32 v[33:34], null, s8, v177, 0
	s_delay_alu instid0(VALU_DEP_2) | instskip(NEXT) | instid1(VALU_DEP_2)
	v_lshlrev_b64 v[31:32], 2, v[31:32]
	v_mad_u64_u32 v[35:36], null, s9, v177, v[34:35]
	s_delay_alu instid0(VALU_DEP_1) | instskip(NEXT) | instid1(VALU_DEP_3)
	v_mov_b32_e32 v34, v35
	v_add_co_u32 v35, vcc_lo, s0, v31
	s_delay_alu instid0(VALU_DEP_4) | instskip(NEXT) | instid1(VALU_DEP_3)
	v_add_co_ci_u32_e32 v36, vcc_lo, s1, v32, vcc_lo
	v_lshlrev_b64 v[31:32], 2, v[33:34]
	s_clause 0x1
	scratch_load_b32 v34, off, off offset:224
	scratch_load_b32 v33, off, off offset:212
	v_add_co_u32 v31, vcc_lo, v35, v31
	scratch_load_b32 v35, off, off offset:228 ; 4-byte Folded Reload
	v_add_co_ci_u32_e32 v32, vcc_lo, v36, v32, vcc_lo
	s_waitcnt vmcnt(12)
	v_mul_f16_e32 v3, v23, v1
	s_waitcnt vmcnt(11)
	s_delay_alu instid0(VALU_DEP_1) | instskip(SKIP_1) | instid1(VALU_DEP_2)
	v_fma_f16 v3, v24, v0, -v3
	v_mul_f16_e32 v0, v23, v0
	v_cvt_f32_f16_e32 v3, v3
	s_delay_alu instid0(VALU_DEP_2) | instskip(NEXT) | instid1(VALU_DEP_2)
	v_fmac_f16_e32 v0, v24, v1
	v_cvt_f64_f32_e32 v[3:4], v3
	s_delay_alu instid0(VALU_DEP_2) | instskip(NEXT) | instid1(VALU_DEP_1)
	v_cvt_f32_f16_e32 v0, v0
	v_cvt_f64_f32_e32 v[0:1], v0
	s_delay_alu instid0(VALU_DEP_3) | instskip(NEXT) | instid1(VALU_DEP_2)
	v_mul_f64 v[5:6], v[3:4], s[10:11]
	v_mul_f64 v[0:1], v[0:1], s[10:11]
	s_delay_alu instid0(VALU_DEP_2) | instskip(SKIP_3) | instid1(VALU_DEP_4)
	v_and_or_b32 v3, 0x1ff, v6, v5
	v_lshrrev_b32_e32 v4, 8, v6
	v_bfe_u32 v10, v6, 20, 11
	v_lshrrev_b32_e32 v6, 16, v6
	v_cmp_ne_u32_e32 vcc_lo, 0, v3
	v_and_or_b32 v0, 0x1ff, v1, v0
	v_cndmask_b32_e64 v3, 0, 1, vcc_lo
	s_delay_alu instid0(VALU_DEP_2) | instskip(NEXT) | instid1(VALU_DEP_2)
	v_cmp_ne_u32_e64 s2, 0, v0
	v_and_or_b32 v7, 0xffe, v4, v3
	v_sub_nc_u32_e32 v3, 0x3f1, v10
	s_delay_alu instid0(VALU_DEP_3) | instskip(NEXT) | instid1(VALU_DEP_3)
	v_cndmask_b32_e64 v0, 0, 1, s2
	v_or_b32_e32 v4, 0x1000, v7
	s_delay_alu instid0(VALU_DEP_3) | instskip(NEXT) | instid1(VALU_DEP_1)
	v_med3_i32 v3, v3, 0, 13
	v_lshrrev_b32_e32 v14, v3, v4
	s_delay_alu instid0(VALU_DEP_1) | instskip(NEXT) | instid1(VALU_DEP_1)
	v_lshlrev_b32_e32 v3, v3, v14
	v_cmp_ne_u32_e64 s1, v3, v4
	s_waitcnt vmcnt(10)
	v_mul_f16_e32 v3, v25, v9
	s_waitcnt vmcnt(9)
	s_delay_alu instid0(VALU_DEP_1) | instskip(NEXT) | instid1(VALU_DEP_1)
	v_fma_f16 v3, v26, v16, -v3
	v_cvt_f32_f16_e32 v3, v3
	s_delay_alu instid0(VALU_DEP_1) | instskip(NEXT) | instid1(VALU_DEP_1)
	v_cvt_f64_f32_e32 v[3:4], v3
	v_mul_f64 v[12:13], v[3:4], s[10:11]
	s_delay_alu instid0(VALU_DEP_1)
	v_and_or_b32 v3, 0x1ff, v13, v12
	v_lshrrev_b32_e32 v4, 8, v13
	v_bfe_u32 v19, v13, 20, 11
	ds_load_2addr_b32 v[11:12], v183 offset0:42 offset1:177
	v_cmp_ne_u32_e32 vcc_lo, 0, v3
	v_cndmask_b32_e64 v3, 0, 1, vcc_lo
	s_delay_alu instid0(VALU_DEP_1) | instskip(SKIP_1) | instid1(VALU_DEP_2)
	v_and_or_b32 v18, 0xffe, v4, v3
	v_sub_nc_u32_e32 v3, 0x3f1, v19
	v_or_b32_e32 v4, 0x1000, v18
	s_delay_alu instid0(VALU_DEP_2) | instskip(SKIP_2) | instid1(VALU_DEP_2)
	v_med3_i32 v3, v3, 0, 13
	s_waitcnt lgkmcnt(0)
	v_lshrrev_b32_e32 v17, 16, v11
	v_lshrrev_b32_e32 v20, v3, v4
	s_delay_alu instid0(VALU_DEP_1) | instskip(NEXT) | instid1(VALU_DEP_1)
	v_lshlrev_b32_e32 v3, v3, v20
	v_cmp_ne_u32_e64 s0, v3, v4
	s_waitcnt vmcnt(2)
	v_mul_f16_e32 v3, v34, v11
	s_waitcnt vmcnt(0)
	s_delay_alu instid0(VALU_DEP_1)
	v_fma_f16 v3, v35, v17, -v3
	v_mul_f16_e32 v17, v34, v17
	scratch_load_b32 v34, off, off offset:188 ; 4-byte Folded Reload
	v_cvt_f32_f16_e32 v3, v3
	v_fmac_f16_e32 v17, v35, v11
	scratch_load_b32 v35, off, off offset:196 ; 4-byte Folded Reload
	v_cvt_f64_f32_e32 v[3:4], v3
	v_cvt_f32_f16_e32 v11, v17
	s_delay_alu instid0(VALU_DEP_2) | instskip(NEXT) | instid1(VALU_DEP_1)
	v_mul_f64 v[3:4], v[3:4], s[10:11]
	v_and_or_b32 v3, 0x1ff, v4, v3
	v_lshrrev_b32_e32 v5, 8, v4
	s_delay_alu instid0(VALU_DEP_2) | instskip(SKIP_1) | instid1(VALU_DEP_1)
	v_cmp_ne_u32_e32 vcc_lo, 0, v3
	v_cndmask_b32_e64 v3, 0, 1, vcc_lo
	v_and_or_b32 v3, 0xffe, v5, v3
	v_bfe_u32 v5, v4, 20, 11
	v_lshrrev_b32_e32 v4, 16, v4
	s_delay_alu instid0(VALU_DEP_3) | instskip(NEXT) | instid1(VALU_DEP_3)
	v_or_b32_e32 v22, 0x1000, v3
	v_sub_nc_u32_e32 v15, 0x3f1, v5
	v_add_nc_u32_e32 v5, 0xfffffc10, v5
	s_delay_alu instid0(VALU_DEP_2) | instskip(NEXT) | instid1(VALU_DEP_1)
	v_med3_i32 v21, v15, 0, 13
	v_lshrrev_b32_e32 v15, v21, v22
	s_delay_alu instid0(VALU_DEP_1) | instskip(NEXT) | instid1(VALU_DEP_1)
	v_lshlrev_b32_e32 v21, v21, v15
	v_cmp_ne_u32_e32 vcc_lo, v21, v22
	v_lshrrev_b32_e32 v21, 8, v1
	s_delay_alu instid0(VALU_DEP_1) | instskip(SKIP_2) | instid1(VALU_DEP_3)
	v_and_or_b32 v0, 0xffe, v21, v0
	v_bfe_u32 v21, v1, 20, 11
	v_lshrrev_b32_e32 v1, 16, v1
	v_or_b32_e32 v23, 0x1000, v0
	s_delay_alu instid0(VALU_DEP_3) | instskip(SKIP_1) | instid1(VALU_DEP_2)
	v_sub_nc_u32_e32 v22, 0x3f1, v21
	v_add_nc_u32_e32 v21, 0xfffffc10, v21
	v_med3_i32 v22, v22, 0, 13
	s_delay_alu instid0(VALU_DEP_1) | instskip(NEXT) | instid1(VALU_DEP_1)
	v_lshrrev_b32_e32 v24, v22, v23
	v_lshlrev_b32_e32 v22, v22, v24
	s_delay_alu instid0(VALU_DEP_1) | instskip(SKIP_1) | instid1(VALU_DEP_2)
	v_cmp_ne_u32_e64 s2, v22, v23
	v_lshl_or_b32 v23, v21, 12, v0
	v_cndmask_b32_e64 v22, 0, 1, s2
	v_cmp_gt_i32_e64 s2, 1, v21
	s_delay_alu instid0(VALU_DEP_2) | instskip(NEXT) | instid1(VALU_DEP_1)
	v_or_b32_e32 v22, v24, v22
	v_cndmask_b32_e64 v22, v23, v22, s2
	s_delay_alu instid0(VALU_DEP_1) | instskip(NEXT) | instid1(VALU_DEP_1)
	v_and_b32_e32 v23, 7, v22
	v_cmp_lt_i32_e64 s2, 5, v23
	v_cmp_eq_u32_e64 s3, 3, v23
	v_cndmask_b32_e64 v23, 0, 1, s1
	v_cmp_ne_u32_e64 s1, 0, v0
	v_add_nc_u32_e32 v0, 0xfffffc10, v10
	s_delay_alu instid0(VALU_DEP_4) | instskip(NEXT) | instid1(VALU_DEP_3)
	s_or_b32 s2, s3, s2
	v_or_b32_e32 v14, v14, v23
	v_cmp_ne_u32_e64 s3, 0, v7
	s_delay_alu instid0(VALU_DEP_3) | instskip(SKIP_1) | instid1(VALU_DEP_1)
	v_lshl_or_b32 v10, v0, 12, v7
	v_cmp_gt_i32_e64 s4, 1, v0
	v_cndmask_b32_e64 v10, v10, v14, s4
	v_lshrrev_b32_e32 v14, 2, v22
	v_cndmask_b32_e64 v22, 0, 1, s1
	v_cmp_eq_u32_e64 s1, 0x40f, v21
	v_cmp_gt_i32_e64 s4, 1, v5
	v_lshrrev_b32_e32 v7, 2, v10
	v_add_co_ci_u32_e64 v14, s2, 0, v14, s2
	v_cmp_gt_i32_e64 s2, 31, v21
	v_lshl_or_b32 v22, v22, 9, 0x7c00
	v_and_b32_e32 v21, 7, v10
	v_cndmask_b32_e64 v10, 0, 1, s3
	s_delay_alu instid0(VALU_DEP_4) | instskip(NEXT) | instid1(VALU_DEP_3)
	v_cndmask_b32_e64 v14, 0x7c00, v14, s2
	v_cmp_eq_u32_e64 s2, 3, v21
	s_delay_alu instid0(VALU_DEP_3) | instskip(NEXT) | instid1(VALU_DEP_3)
	v_lshl_or_b32 v10, v10, 9, 0x7c00
	v_cndmask_b32_e64 v14, v14, v22, s1
	v_cmp_lt_i32_e64 s1, 5, v21
	s_delay_alu instid0(VALU_DEP_2) | instskip(NEXT) | instid1(VALU_DEP_2)
	v_and_or_b32 v1, 0x8000, v1, v14
	s_or_b32 s1, s2, s1
	s_delay_alu instid0(SALU_CYCLE_1) | instskip(SKIP_1) | instid1(VALU_DEP_3)
	v_add_co_ci_u32_e64 v7, s1, 0, v7, s1
	v_cmp_gt_i32_e64 s1, 31, v0
	v_and_b32_e32 v1, 0xffff, v1
	s_delay_alu instid0(VALU_DEP_2) | instskip(SKIP_1) | instid1(VALU_DEP_1)
	v_cndmask_b32_e64 v7, 0x7c00, v7, s1
	v_cmp_eq_u32_e64 s1, 0x40f, v0
	v_cndmask_b32_e64 v0, v7, v10, s1
	s_mul_i32 s1, s9, 0x654
	s_delay_alu instid0(SALU_CYCLE_1) | instskip(NEXT) | instid1(VALU_DEP_1)
	s_add_i32 s12, s12, s1
	v_and_or_b32 v0, 0x8000, v6, v0
	v_mul_f16_e32 v6, v25, v16
	s_delay_alu instid0(VALU_DEP_2) | instskip(NEXT) | instid1(VALU_DEP_2)
	v_lshl_or_b32 v0, v0, 16, v1
	v_fmac_f16_e32 v6, v26, v9
	scratch_load_b32 v26, off, off offset:208 ; 4-byte Folded Reload
	global_store_b32 v[31:32], v0, off
	v_cvt_f32_f16_e32 v6, v6
	v_add_co_u32 v0, s1, v31, s13
	s_delay_alu instid0(VALU_DEP_1) | instskip(NEXT) | instid1(VALU_DEP_3)
	v_add_co_ci_u32_e64 v1, s1, s12, v32, s1
	v_cvt_f64_f32_e32 v[6:7], v6
	s_clause 0x1
	scratch_load_b32 v32, off, off offset:204
	scratch_load_b32 v31, off, off offset:192
	v_mul_f64 v[6:7], v[6:7], s[10:11]
	s_delay_alu instid0(VALU_DEP_1) | instskip(SKIP_1) | instid1(VALU_DEP_2)
	v_and_or_b32 v6, 0x1ff, v7, v6
	v_lshrrev_b32_e32 v9, 8, v7
	v_cmp_ne_u32_e64 s1, 0, v6
	s_delay_alu instid0(VALU_DEP_1) | instskip(NEXT) | instid1(VALU_DEP_1)
	v_cndmask_b32_e64 v6, 0, 1, s1
	v_and_or_b32 v6, 0xffe, v9, v6
	v_bfe_u32 v9, v7, 20, 11
	v_lshrrev_b32_e32 v7, 16, v7
	s_delay_alu instid0(VALU_DEP_3) | instskip(NEXT) | instid1(VALU_DEP_3)
	v_or_b32_e32 v14, 0x1000, v6
	v_sub_nc_u32_e32 v10, 0x3f1, v9
	v_add_nc_u32_e32 v9, 0xfffffc10, v9
	s_delay_alu instid0(VALU_DEP_2) | instskip(NEXT) | instid1(VALU_DEP_1)
	v_med3_i32 v10, v10, 0, 13
	v_lshrrev_b32_e32 v16, v10, v14
	s_delay_alu instid0(VALU_DEP_1) | instskip(NEXT) | instid1(VALU_DEP_1)
	v_lshlrev_b32_e32 v10, v10, v16
	v_cmp_ne_u32_e64 s1, v10, v14
	v_lshl_or_b32 v14, v9, 12, v6
	s_delay_alu instid0(VALU_DEP_2) | instskip(SKIP_1) | instid1(VALU_DEP_2)
	v_cndmask_b32_e64 v10, 0, 1, s1
	v_cmp_gt_i32_e64 s1, 1, v9
	v_or_b32_e32 v10, v16, v10
	s_delay_alu instid0(VALU_DEP_1) | instskip(NEXT) | instid1(VALU_DEP_1)
	v_cndmask_b32_e64 v10, v14, v10, s1
	v_and_b32_e32 v14, 7, v10
	v_lshrrev_b32_e32 v10, 2, v10
	s_delay_alu instid0(VALU_DEP_2) | instskip(SKIP_4) | instid1(VALU_DEP_4)
	v_cmp_lt_i32_e64 s1, 5, v14
	v_cmp_eq_u32_e64 s2, 3, v14
	v_cndmask_b32_e64 v14, 0, 1, s0
	v_cmp_ne_u32_e64 s0, 0, v6
	v_add_nc_u32_e32 v6, 0xfffffc10, v19
	s_or_b32 s1, s2, s1
	s_delay_alu instid0(VALU_DEP_3) | instskip(SKIP_1) | instid1(VALU_DEP_3)
	v_or_b32_e32 v14, v20, v14
	v_add_co_ci_u32_e64 v10, s1, 0, v10, s1
	v_lshl_or_b32 v16, v6, 12, v18
	v_cmp_gt_i32_e64 s3, 1, v6
	v_cmp_gt_i32_e64 s1, 31, v9
	v_cmp_ne_u32_e64 s2, 0, v18
	s_delay_alu instid0(VALU_DEP_3) | instskip(SKIP_1) | instid1(VALU_DEP_4)
	v_cndmask_b32_e64 v14, v16, v14, s3
	v_cndmask_b32_e64 v16, 0, 1, s0
	;; [unrolled: 1-line block ×3, first 2 shown]
	v_cmp_eq_u32_e64 s0, 0x40f, v9
	s_delay_alu instid0(VALU_DEP_3) | instskip(NEXT) | instid1(VALU_DEP_1)
	v_lshl_or_b32 v16, v16, 9, 0x7c00
	v_cndmask_b32_e64 v9, v10, v16, s0
	v_and_b32_e32 v10, 7, v14
	s_delay_alu instid0(VALU_DEP_2) | instskip(NEXT) | instid1(VALU_DEP_2)
	v_and_or_b32 v7, 0x8000, v7, v9
	v_cmp_lt_i32_e64 s0, 5, v10
	v_cmp_eq_u32_e64 s1, 3, v10
	v_lshrrev_b32_e32 v10, 2, v14
	v_cndmask_b32_e64 v14, 0, 1, s2
	v_and_b32_e32 v7, 0xffff, v7
	s_delay_alu instid0(VALU_DEP_4)
	s_or_b32 s0, s1, s0
	s_delay_alu instid0(VALU_DEP_3) | instid1(SALU_CYCLE_1)
	v_add_co_ci_u32_e64 v10, s0, 0, v10, s0
	v_cmp_gt_i32_e64 s0, 31, v6
	v_lshl_or_b32 v14, v14, 9, 0x7c00
	s_delay_alu instid0(VALU_DEP_2) | instskip(SKIP_1) | instid1(VALU_DEP_1)
	v_cndmask_b32_e64 v10, 0x7c00, v10, s0
	v_cmp_eq_u32_e64 s0, 0x40f, v6
	v_cndmask_b32_e64 v6, v10, v14, s0
	v_lshrrev_b32_e32 v10, 16, v13
	v_add_co_u32 v20, s0, v0, s13
	s_delay_alu instid0(VALU_DEP_1) | instskip(NEXT) | instid1(VALU_DEP_3)
	v_add_co_ci_u32_e64 v21, s0, s12, v1, s0
	v_and_or_b32 v6, 0x8000, v10, v6
	ds_load_2addr_b32 v[9:10], v180 offset0:84 offset1:219
	v_lshl_or_b32 v6, v6, 16, v7
	global_store_b32 v[0:1], v6, off
	ds_load_2addr_b32 v[6:7], v182 offset0:56 offset1:191
	s_waitcnt lgkmcnt(0)
	v_lshrrev_b32_e32 v25, 16, v7
	s_waitcnt vmcnt(2)
	v_mul_f16_e32 v0, v26, v7
	s_delay_alu instid0(VALU_DEP_1) | instskip(NEXT) | instid1(VALU_DEP_1)
	v_fma_f16 v0, v33, v25, -v0
	v_cvt_f32_f16_e32 v0, v0
	s_delay_alu instid0(VALU_DEP_1) | instskip(NEXT) | instid1(VALU_DEP_1)
	v_cvt_f64_f32_e32 v[0:1], v0
	v_mul_f64 v[13:14], v[0:1], s[10:11]
	s_delay_alu instid0(VALU_DEP_1)
	v_and_or_b32 v0, 0x1ff, v14, v13
	v_lshrrev_b32_e32 v1, 8, v14
	v_bfe_u32 v28, v14, 20, 11
	v_lshrrev_b32_e32 v13, 16, v9
	v_lshrrev_b32_e32 v14, 16, v14
	v_cmp_ne_u32_e64 s0, 0, v0
	s_delay_alu instid0(VALU_DEP_1) | instskip(NEXT) | instid1(VALU_DEP_1)
	v_cndmask_b32_e64 v0, 0, 1, s0
	v_and_or_b32 v27, 0xffe, v1, v0
	v_sub_nc_u32_e32 v0, 0x3f1, v28
	s_delay_alu instid0(VALU_DEP_2) | instskip(NEXT) | instid1(VALU_DEP_2)
	v_or_b32_e32 v1, 0x1000, v27
	v_med3_i32 v0, v0, 0, 13
	s_delay_alu instid0(VALU_DEP_1) | instskip(NEXT) | instid1(VALU_DEP_1)
	v_lshrrev_b32_e32 v29, v0, v1
	v_lshlrev_b32_e32 v0, v0, v29
	s_delay_alu instid0(VALU_DEP_1) | instskip(SKIP_2) | instid1(VALU_DEP_1)
	v_cmp_ne_u32_e64 s2, v0, v1
	v_mul_f16_e32 v0, v30, v9
	s_waitcnt vmcnt(1)
	v_fma_f16 v0, v32, v13, -v0
	s_delay_alu instid0(VALU_DEP_1) | instskip(NEXT) | instid1(VALU_DEP_1)
	v_cvt_f32_f16_e32 v0, v0
	v_cvt_f64_f32_e32 v[0:1], v0
	s_delay_alu instid0(VALU_DEP_1) | instskip(NEXT) | instid1(VALU_DEP_1)
	v_mul_f64 v[0:1], v[0:1], s[10:11]
	v_and_or_b32 v0, 0x1ff, v1, v0
	v_lshrrev_b32_e32 v16, 8, v1
	s_delay_alu instid0(VALU_DEP_2) | instskip(NEXT) | instid1(VALU_DEP_1)
	v_cmp_ne_u32_e64 s0, 0, v0
	v_cndmask_b32_e64 v0, 0, 1, s0
	s_delay_alu instid0(VALU_DEP_1) | instskip(SKIP_2) | instid1(VALU_DEP_3)
	v_and_or_b32 v0, 0xffe, v16, v0
	v_bfe_u32 v16, v1, 20, 11
	v_lshrrev_b32_e32 v1, 16, v1
	v_or_b32_e32 v22, 0x1000, v0
	s_delay_alu instid0(VALU_DEP_3) | instskip(NEXT) | instid1(VALU_DEP_1)
	v_sub_nc_u32_e32 v18, 0x3f1, v16
	v_med3_i32 v18, v18, 0, 13
	s_delay_alu instid0(VALU_DEP_1) | instskip(NEXT) | instid1(VALU_DEP_1)
	v_lshrrev_b32_e32 v19, v18, v22
	v_lshlrev_b32_e32 v18, v18, v19
	s_delay_alu instid0(VALU_DEP_1) | instskip(SKIP_1) | instid1(VALU_DEP_1)
	v_cmp_ne_u32_e64 s1, v18, v22
	v_cvt_f64_f32_e32 v[17:18], v11
	v_mul_f64 v[17:18], v[17:18], s[10:11]
	s_delay_alu instid0(VALU_DEP_1) | instskip(SKIP_1) | instid1(VALU_DEP_2)
	v_and_or_b32 v11, 0x1ff, v18, v17
	v_lshrrev_b32_e32 v17, 8, v18
	v_cmp_ne_u32_e64 s0, 0, v11
	s_delay_alu instid0(VALU_DEP_1) | instskip(NEXT) | instid1(VALU_DEP_1)
	v_cndmask_b32_e64 v11, 0, 1, s0
	v_and_or_b32 v11, 0xffe, v17, v11
	v_bfe_u32 v17, v18, 20, 11
	s_delay_alu instid0(VALU_DEP_2) | instskip(NEXT) | instid1(VALU_DEP_2)
	v_or_b32_e32 v23, 0x1000, v11
	v_sub_nc_u32_e32 v22, 0x3f1, v17
	v_add_nc_u32_e32 v17, 0xfffffc10, v17
	s_delay_alu instid0(VALU_DEP_2) | instskip(NEXT) | instid1(VALU_DEP_1)
	v_med3_i32 v22, v22, 0, 13
	v_lshrrev_b32_e32 v24, v22, v23
	s_delay_alu instid0(VALU_DEP_1) | instskip(NEXT) | instid1(VALU_DEP_1)
	v_lshlrev_b32_e32 v22, v22, v24
	v_cmp_ne_u32_e64 s0, v22, v23
	v_lshl_or_b32 v23, v17, 12, v11
	s_delay_alu instid0(VALU_DEP_2) | instskip(SKIP_1) | instid1(VALU_DEP_2)
	v_cndmask_b32_e64 v22, 0, 1, s0
	v_cmp_gt_i32_e64 s0, 1, v17
	v_or_b32_e32 v22, v24, v22
	s_delay_alu instid0(VALU_DEP_1) | instskip(NEXT) | instid1(VALU_DEP_1)
	v_cndmask_b32_e64 v22, v23, v22, s0
	v_and_b32_e32 v23, 7, v22
	s_delay_alu instid0(VALU_DEP_1) | instskip(SKIP_4) | instid1(VALU_DEP_4)
	v_cmp_lt_i32_e64 s0, 5, v23
	v_cmp_eq_u32_e64 s3, 3, v23
	v_cndmask_b32_e64 v23, 0, 1, vcc_lo
	v_cmp_ne_u32_e32 vcc_lo, 0, v11
	v_lshl_or_b32 v11, v5, 12, v3
	s_or_b32 s0, s3, s0
	s_delay_alu instid0(VALU_DEP_3) | instskip(SKIP_2) | instid1(VALU_DEP_3)
	v_or_b32_e32 v15, v15, v23
	v_cmp_ne_u32_e64 s3, 0, v3
	v_lshrrev_b32_e32 v3, 16, v18
	v_cndmask_b32_e64 v11, v11, v15, s4
	v_lshrrev_b32_e32 v15, 2, v22
	v_cndmask_b32_e64 v22, 0, 1, vcc_lo
	v_cmp_eq_u32_e32 vcc_lo, 0x40f, v17
	s_delay_alu instid0(VALU_DEP_3) | instskip(SKIP_1) | instid1(VALU_DEP_4)
	v_add_co_ci_u32_e64 v15, s0, 0, v15, s0
	v_cmp_gt_i32_e64 s0, 31, v17
	v_lshl_or_b32 v22, v22, 9, 0x7c00
	v_and_b32_e32 v17, 7, v11
	v_lshrrev_b32_e32 v11, 2, v11
	s_delay_alu instid0(VALU_DEP_4) | instskip(NEXT) | instid1(VALU_DEP_3)
	v_cndmask_b32_e64 v15, 0x7c00, v15, s0
	v_cmp_eq_u32_e64 s0, 3, v17
	s_delay_alu instid0(VALU_DEP_2) | instskip(SKIP_2) | instid1(VALU_DEP_3)
	v_cndmask_b32_e32 v15, v15, v22, vcc_lo
	v_cmp_lt_i32_e32 vcc_lo, 5, v17
	v_cndmask_b32_e64 v17, 0, 1, s3
	v_and_or_b32 v3, 0x8000, v3, v15
	s_or_b32 vcc_lo, s0, vcc_lo
	s_delay_alu instid0(VALU_DEP_2) | instskip(SKIP_3) | instid1(VALU_DEP_3)
	v_lshl_or_b32 v17, v17, 9, 0x7c00
	v_add_co_ci_u32_e32 v11, vcc_lo, 0, v11, vcc_lo
	v_cmp_gt_i32_e32 vcc_lo, 31, v5
	v_and_b32_e32 v3, 0xffff, v3
	v_cndmask_b32_e32 v11, 0x7c00, v11, vcc_lo
	v_cmp_eq_u32_e32 vcc_lo, 0x40f, v5
	s_delay_alu instid0(VALU_DEP_2) | instskip(SKIP_2) | instid1(VALU_DEP_3)
	v_cndmask_b32_e32 v5, v11, v17, vcc_lo
	v_add_co_u32 v23, vcc_lo, v20, s13
	v_add_co_ci_u32_e32 v24, vcc_lo, s12, v21, vcc_lo
	v_and_or_b32 v4, 0x8000, v4, v5
	s_delay_alu instid0(VALU_DEP_1)
	v_lshl_or_b32 v3, v4, 16, v3
	ds_load_2addr_b32 v[4:5], v178 offset0:98 offset1:233
	global_store_b32 v[20:21], v3, off
	s_waitcnt lgkmcnt(0)
	v_lshrrev_b32_e32 v22, 16, v5
	s_waitcnt vmcnt(0)
	v_mul_f16_e32 v3, v31, v5
	s_delay_alu instid0(VALU_DEP_1) | instskip(NEXT) | instid1(VALU_DEP_1)
	v_fma_f16 v3, v35, v22, -v3
	v_cvt_f32_f16_e32 v3, v3
	s_delay_alu instid0(VALU_DEP_1) | instskip(NEXT) | instid1(VALU_DEP_1)
	v_cvt_f64_f32_e32 v[17:18], v3
	v_mul_f64 v[17:18], v[17:18], s[10:11]
	s_delay_alu instid0(VALU_DEP_1) | instskip(SKIP_2) | instid1(VALU_DEP_3)
	v_and_or_b32 v3, 0x1ff, v18, v17
	v_lshrrev_b32_e32 v11, 8, v18
	v_bfe_u32 v20, v18, 20, 11
	v_cmp_ne_u32_e32 vcc_lo, 0, v3
	v_cndmask_b32_e64 v3, 0, 1, vcc_lo
	s_delay_alu instid0(VALU_DEP_1) | instskip(NEXT) | instid1(VALU_DEP_4)
	v_and_or_b32 v3, 0xffe, v11, v3
	v_sub_nc_u32_e32 v11, 0x3f1, v20
	s_delay_alu instid0(VALU_DEP_2) | instskip(NEXT) | instid1(VALU_DEP_2)
	v_or_b32_e32 v15, 0x1000, v3
	v_med3_i32 v11, v11, 0, 13
	s_delay_alu instid0(VALU_DEP_1) | instskip(NEXT) | instid1(VALU_DEP_1)
	v_lshrrev_b32_e32 v21, v11, v15
	v_lshlrev_b32_e32 v11, v11, v21
	s_delay_alu instid0(VALU_DEP_1) | instskip(SKIP_1) | instid1(VALU_DEP_1)
	v_cmp_ne_u32_e64 s0, v11, v15
	v_mul_f16_e32 v11, v26, v25
	v_fmac_f16_e32 v11, v33, v7
	scratch_load_b32 v33, off, off offset:176 ; 4-byte Folded Reload
	v_cvt_f32_f16_e32 v7, v11
	s_delay_alu instid0(VALU_DEP_1) | instskip(NEXT) | instid1(VALU_DEP_1)
	v_cvt_f64_f32_e32 v[25:26], v7
	v_mul_f64 v[25:26], v[25:26], s[10:11]
	s_delay_alu instid0(VALU_DEP_1) | instskip(SKIP_1) | instid1(VALU_DEP_2)
	v_and_or_b32 v7, 0x1ff, v26, v25
	v_lshrrev_b32_e32 v11, 8, v26
	v_cmp_ne_u32_e32 vcc_lo, 0, v7
	v_cndmask_b32_e64 v7, 0, 1, vcc_lo
	s_delay_alu instid0(VALU_DEP_1) | instskip(SKIP_1) | instid1(VALU_DEP_2)
	v_and_or_b32 v7, 0xffe, v11, v7
	v_bfe_u32 v11, v26, 20, 11
	v_or_b32_e32 v17, 0x1000, v7
	s_delay_alu instid0(VALU_DEP_2) | instskip(SKIP_1) | instid1(VALU_DEP_2)
	v_sub_nc_u32_e32 v15, 0x3f1, v11
	v_add_nc_u32_e32 v11, 0xfffffc10, v11
	v_med3_i32 v15, v15, 0, 13
	s_delay_alu instid0(VALU_DEP_1) | instskip(NEXT) | instid1(VALU_DEP_1)
	v_lshrrev_b32_e32 v25, v15, v17
	v_lshlrev_b32_e32 v15, v15, v25
	s_delay_alu instid0(VALU_DEP_1) | instskip(SKIP_3) | instid1(VALU_DEP_2)
	v_cmp_ne_u32_e32 vcc_lo, v15, v17
	v_lshl_or_b32 v17, v11, 12, v7
	v_cndmask_b32_e64 v15, 0, 1, vcc_lo
	v_cmp_gt_i32_e32 vcc_lo, 1, v11
	v_or_b32_e32 v15, v25, v15
	s_delay_alu instid0(VALU_DEP_1) | instskip(NEXT) | instid1(VALU_DEP_1)
	v_cndmask_b32_e32 v15, v17, v15, vcc_lo
	v_and_b32_e32 v17, 7, v15
	v_lshrrev_b32_e32 v15, 2, v15
	s_delay_alu instid0(VALU_DEP_2) | instskip(SKIP_4) | instid1(VALU_DEP_4)
	v_cmp_lt_i32_e32 vcc_lo, 5, v17
	v_cmp_eq_u32_e64 s3, 3, v17
	v_cndmask_b32_e64 v17, 0, 1, s2
	v_cmp_ne_u32_e64 s2, 0, v7
	v_add_nc_u32_e32 v7, 0xfffffc10, v28
	s_or_b32 vcc_lo, s3, vcc_lo
	s_delay_alu instid0(VALU_DEP_3) | instskip(SKIP_1) | instid1(VALU_DEP_3)
	v_or_b32_e32 v17, v29, v17
	v_add_co_ci_u32_e32 v15, vcc_lo, 0, v15, vcc_lo
	v_lshl_or_b32 v25, v7, 12, v27
	v_cmp_gt_i32_e64 s4, 1, v7
	v_cmp_gt_i32_e32 vcc_lo, 31, v11
	v_cmp_ne_u32_e64 s3, 0, v27
	s_delay_alu instid0(VALU_DEP_3) | instskip(SKIP_3) | instid1(VALU_DEP_3)
	v_cndmask_b32_e64 v17, v25, v17, s4
	v_cndmask_b32_e64 v25, 0, 1, s2
	v_cndmask_b32_e32 v15, 0x7c00, v15, vcc_lo
	v_cmp_eq_u32_e32 vcc_lo, 0x40f, v11
	v_lshl_or_b32 v25, v25, 9, 0x7c00
	s_delay_alu instid0(VALU_DEP_1) | instskip(SKIP_3) | instid1(VALU_DEP_3)
	v_cndmask_b32_e32 v11, v15, v25, vcc_lo
	v_and_b32_e32 v25, 7, v17
	v_lshrrev_b32_e32 v17, 2, v17
	v_lshrrev_b32_e32 v15, 16, v26
	v_cmp_lt_i32_e32 vcc_lo, 5, v25
	v_cmp_eq_u32_e64 s2, 3, v25
	v_cndmask_b32_e64 v25, 0, 1, s3
	s_delay_alu instid0(VALU_DEP_4) | instskip(NEXT) | instid1(VALU_DEP_3)
	v_and_or_b32 v11, 0x8000, v15, v11
	s_or_b32 vcc_lo, s2, vcc_lo
	s_delay_alu instid0(VALU_DEP_2) | instskip(SKIP_3) | instid1(VALU_DEP_3)
	v_lshl_or_b32 v25, v25, 9, 0x7c00
	v_add_co_ci_u32_e32 v17, vcc_lo, 0, v17, vcc_lo
	v_cmp_gt_i32_e32 vcc_lo, 31, v7
	v_and_b32_e32 v11, 0xffff, v11
	v_cndmask_b32_e32 v17, 0x7c00, v17, vcc_lo
	v_cmp_eq_u32_e32 vcc_lo, 0x40f, v7
	s_delay_alu instid0(VALU_DEP_2) | instskip(NEXT) | instid1(VALU_DEP_1)
	v_cndmask_b32_e32 v7, v17, v25, vcc_lo
	v_and_or_b32 v7, 0x8000, v14, v7
	v_add_co_u32 v14, vcc_lo, v23, s13
	v_add_co_ci_u32_e32 v15, vcc_lo, s12, v24, vcc_lo
	s_delay_alu instid0(VALU_DEP_3) | instskip(SKIP_2) | instid1(VALU_DEP_1)
	v_lshl_or_b32 v7, v7, 16, v11
	global_store_b32 v[23:24], v7, off
	v_mul_f16_e32 v7, v30, v13
	v_fmac_f16_e32 v7, v32, v9
	scratch_load_b32 v32, off, off offset:184 ; 4-byte Folded Reload
	v_cvt_f32_f16_e32 v7, v7
	s_delay_alu instid0(VALU_DEP_1) | instskip(NEXT) | instid1(VALU_DEP_1)
	v_cvt_f64_f32_e32 v[23:24], v7
	v_mul_f64 v[23:24], v[23:24], s[10:11]
	s_delay_alu instid0(VALU_DEP_1) | instskip(SKIP_1) | instid1(VALU_DEP_2)
	v_and_or_b32 v7, 0x1ff, v24, v23
	v_lshrrev_b32_e32 v9, 8, v24
	v_cmp_ne_u32_e32 vcc_lo, 0, v7
	v_cndmask_b32_e64 v7, 0, 1, vcc_lo
	s_delay_alu instid0(VALU_DEP_1) | instskip(SKIP_1) | instid1(VALU_DEP_2)
	v_and_or_b32 v7, 0xffe, v9, v7
	v_bfe_u32 v9, v24, 20, 11
	v_or_b32_e32 v13, 0x1000, v7
	s_delay_alu instid0(VALU_DEP_2) | instskip(SKIP_1) | instid1(VALU_DEP_2)
	v_sub_nc_u32_e32 v11, 0x3f1, v9
	v_add_nc_u32_e32 v9, 0xfffffc10, v9
	v_med3_i32 v11, v11, 0, 13
	s_delay_alu instid0(VALU_DEP_1) | instskip(NEXT) | instid1(VALU_DEP_1)
	v_lshrrev_b32_e32 v17, v11, v13
	v_lshlrev_b32_e32 v11, v11, v17
	s_delay_alu instid0(VALU_DEP_1) | instskip(SKIP_3) | instid1(VALU_DEP_2)
	v_cmp_ne_u32_e32 vcc_lo, v11, v13
	v_lshl_or_b32 v13, v9, 12, v7
	v_cndmask_b32_e64 v11, 0, 1, vcc_lo
	v_cmp_gt_i32_e32 vcc_lo, 1, v9
	v_or_b32_e32 v11, v17, v11
	s_delay_alu instid0(VALU_DEP_1) | instskip(NEXT) | instid1(VALU_DEP_1)
	v_cndmask_b32_e32 v11, v13, v11, vcc_lo
	v_and_b32_e32 v13, 7, v11
	v_lshrrev_b32_e32 v11, 2, v11
	s_delay_alu instid0(VALU_DEP_2) | instskip(SKIP_4) | instid1(VALU_DEP_4)
	v_cmp_lt_i32_e32 vcc_lo, 5, v13
	v_cmp_eq_u32_e64 s2, 3, v13
	v_cndmask_b32_e64 v13, 0, 1, s1
	v_cmp_ne_u32_e64 s1, 0, v7
	v_add_nc_u32_e32 v7, 0xfffffc10, v16
	s_or_b32 vcc_lo, s2, vcc_lo
	s_delay_alu instid0(VALU_DEP_3) | instskip(SKIP_1) | instid1(VALU_DEP_3)
	v_or_b32_e32 v13, v19, v13
	v_add_co_ci_u32_e32 v11, vcc_lo, 0, v11, vcc_lo
	v_lshl_or_b32 v16, v7, 12, v0
	v_cmp_gt_i32_e64 s3, 1, v7
	v_cmp_gt_i32_e32 vcc_lo, 31, v9
	v_cmp_ne_u32_e64 s2, 0, v0
	v_lshrrev_b32_e32 v0, 16, v24
	s_delay_alu instid0(VALU_DEP_4) | instskip(SKIP_3) | instid1(VALU_DEP_3)
	v_cndmask_b32_e64 v13, v16, v13, s3
	v_cndmask_b32_e64 v16, 0, 1, s1
	v_cndmask_b32_e32 v11, 0x7c00, v11, vcc_lo
	v_cmp_eq_u32_e32 vcc_lo, 0x40f, v9
	v_lshl_or_b32 v16, v16, 9, 0x7c00
	s_delay_alu instid0(VALU_DEP_1) | instskip(SKIP_1) | instid1(VALU_DEP_2)
	v_cndmask_b32_e32 v9, v11, v16, vcc_lo
	v_and_b32_e32 v11, 7, v13
	v_and_or_b32 v0, 0x8000, v0, v9
	s_delay_alu instid0(VALU_DEP_2) | instskip(SKIP_4) | instid1(VALU_DEP_4)
	v_cmp_lt_i32_e32 vcc_lo, 5, v11
	v_cmp_eq_u32_e64 s1, 3, v11
	v_lshrrev_b32_e32 v11, 2, v13
	v_cndmask_b32_e64 v13, 0, 1, s2
	v_and_b32_e32 v0, 0xffff, v0
	s_or_b32 vcc_lo, s1, vcc_lo
	s_delay_alu instid0(VALU_DEP_3) | instskip(SKIP_2) | instid1(VALU_DEP_3)
	v_add_co_ci_u32_e32 v11, vcc_lo, 0, v11, vcc_lo
	v_cmp_gt_i32_e32 vcc_lo, 31, v7
	v_lshl_or_b32 v13, v13, 9, 0x7c00
	v_cndmask_b32_e32 v11, 0x7c00, v11, vcc_lo
	v_cmp_eq_u32_e32 vcc_lo, 0x40f, v7
	s_delay_alu instid0(VALU_DEP_2) | instskip(SKIP_2) | instid1(VALU_DEP_3)
	v_cndmask_b32_e32 v7, v11, v13, vcc_lo
	v_add_co_u32 v25, vcc_lo, v14, s13
	v_add_co_ci_u32_e32 v26, vcc_lo, s12, v15, vcc_lo
	v_and_or_b32 v1, 0x8000, v1, v7
	s_delay_alu instid0(VALU_DEP_1)
	v_lshl_or_b32 v0, v1, 16, v0
	global_store_b32 v[14:15], v0, off
	ds_load_2addr_b32 v[14:15], v171 offset0:62 offset1:197
	s_waitcnt lgkmcnt(0)
	v_lshrrev_b32_e32 v9, 16, v14
	v_mul_f16_e32 v0, v34, v14
	s_waitcnt vmcnt(0)
	s_delay_alu instid0(VALU_DEP_1) | instskip(NEXT) | instid1(VALU_DEP_1)
	v_fma_f16 v0, v32, v9, -v0
	v_cvt_f32_f16_e32 v0, v0
	s_delay_alu instid0(VALU_DEP_1) | instskip(NEXT) | instid1(VALU_DEP_1)
	v_cvt_f64_f32_e32 v[0:1], v0
	v_mul_f64 v[27:28], v[0:1], s[10:11]
	s_delay_alu instid0(VALU_DEP_1) | instskip(SKIP_2) | instid1(VALU_DEP_3)
	v_and_or_b32 v0, 0x1ff, v28, v27
	v_lshrrev_b32_e32 v1, 8, v28
	v_bfe_u32 v29, v28, 20, 11
	v_cmp_ne_u32_e32 vcc_lo, 0, v0
	v_cndmask_b32_e64 v0, 0, 1, vcc_lo
	s_delay_alu instid0(VALU_DEP_1) | instskip(NEXT) | instid1(VALU_DEP_4)
	v_and_or_b32 v27, 0xffe, v1, v0
	v_sub_nc_u32_e32 v0, 0x3f1, v29
	s_delay_alu instid0(VALU_DEP_2) | instskip(NEXT) | instid1(VALU_DEP_2)
	v_or_b32_e32 v1, 0x1000, v27
	v_med3_i32 v0, v0, 0, 13
	s_delay_alu instid0(VALU_DEP_1) | instskip(NEXT) | instid1(VALU_DEP_1)
	v_lshrrev_b32_e32 v30, v0, v1
	v_lshlrev_b32_e32 v0, v0, v30
	s_delay_alu instid0(VALU_DEP_1) | instskip(SKIP_4) | instid1(VALU_DEP_1)
	v_cmp_ne_u32_e64 s1, v0, v1
	ds_load_2addr_b32 v[0:1], v174 offset0:12 offset1:147
	s_waitcnt lgkmcnt(0)
	v_lshrrev_b32_e32 v7, 16, v1
	v_mul_f16_e32 v11, v37, v1
	v_fma_f16 v11, v33, v7, -v11
	v_mul_f16_e32 v7, v37, v7
	s_delay_alu instid0(VALU_DEP_2) | instskip(NEXT) | instid1(VALU_DEP_2)
	v_cvt_f32_f16_e32 v11, v11
	v_fmac_f16_e32 v7, v33, v1
	s_delay_alu instid0(VALU_DEP_2) | instskip(NEXT) | instid1(VALU_DEP_2)
	v_cvt_f64_f32_e32 v[16:17], v11
	v_cvt_f32_f16_e32 v1, v7
	s_delay_alu instid0(VALU_DEP_2) | instskip(NEXT) | instid1(VALU_DEP_1)
	v_mul_f64 v[16:17], v[16:17], s[10:11]
	v_and_or_b32 v11, 0x1ff, v17, v16
	v_lshrrev_b32_e32 v13, 8, v17
	v_bfe_u32 v16, v17, 20, 11
	s_delay_alu instid0(VALU_DEP_3) | instskip(SKIP_1) | instid1(VALU_DEP_1)
	v_cmp_ne_u32_e32 vcc_lo, 0, v11
	v_cndmask_b32_e64 v11, 0, 1, vcc_lo
	v_and_or_b32 v11, 0xffe, v13, v11
	s_delay_alu instid0(VALU_DEP_4) | instskip(SKIP_1) | instid1(VALU_DEP_3)
	v_sub_nc_u32_e32 v13, 0x3f1, v16
	v_add_nc_u32_e32 v16, 0xfffffc10, v16
	v_or_b32_e32 v19, 0x1000, v11
	s_delay_alu instid0(VALU_DEP_3) | instskip(NEXT) | instid1(VALU_DEP_1)
	v_med3_i32 v13, v13, 0, 13
	v_lshrrev_b32_e32 v24, v13, v19
	s_delay_alu instid0(VALU_DEP_1) | instskip(NEXT) | instid1(VALU_DEP_1)
	v_lshlrev_b32_e32 v13, v13, v24
	v_cmp_ne_u32_e32 vcc_lo, v13, v19
	v_mul_f16_e32 v13, v31, v22
	s_delay_alu instid0(VALU_DEP_1) | instskip(NEXT) | instid1(VALU_DEP_1)
	v_fmac_f16_e32 v13, v35, v5
	v_cvt_f32_f16_e32 v5, v13
	s_delay_alu instid0(VALU_DEP_1) | instskip(NEXT) | instid1(VALU_DEP_1)
	v_cvt_f64_f32_e32 v[22:23], v5
	v_mul_f64 v[22:23], v[22:23], s[10:11]
	s_delay_alu instid0(VALU_DEP_1) | instskip(SKIP_1) | instid1(VALU_DEP_2)
	v_and_or_b32 v5, 0x1ff, v23, v22
	v_lshrrev_b32_e32 v13, 8, v23
	v_cmp_ne_u32_e64 s2, 0, v5
	s_delay_alu instid0(VALU_DEP_1) | instskip(NEXT) | instid1(VALU_DEP_1)
	v_cndmask_b32_e64 v5, 0, 1, s2
	v_and_or_b32 v5, 0xffe, v13, v5
	v_bfe_u32 v13, v23, 20, 11
	s_delay_alu instid0(VALU_DEP_2) | instskip(NEXT) | instid1(VALU_DEP_2)
	v_or_b32_e32 v22, 0x1000, v5
	v_sub_nc_u32_e32 v19, 0x3f1, v13
	v_add_nc_u32_e32 v13, 0xfffffc10, v13
	s_delay_alu instid0(VALU_DEP_2) | instskip(NEXT) | instid1(VALU_DEP_1)
	v_med3_i32 v19, v19, 0, 13
	v_lshrrev_b32_e32 v31, v19, v22
	s_delay_alu instid0(VALU_DEP_1) | instskip(NEXT) | instid1(VALU_DEP_1)
	v_lshlrev_b32_e32 v19, v19, v31
	v_cmp_ne_u32_e64 s2, v19, v22
	v_lshl_or_b32 v22, v13, 12, v5
	s_delay_alu instid0(VALU_DEP_2) | instskip(SKIP_1) | instid1(VALU_DEP_2)
	v_cndmask_b32_e64 v19, 0, 1, s2
	v_cmp_gt_i32_e64 s2, 1, v13
	v_or_b32_e32 v19, v31, v19
	s_delay_alu instid0(VALU_DEP_1) | instskip(NEXT) | instid1(VALU_DEP_1)
	v_cndmask_b32_e64 v19, v22, v19, s2
	v_and_b32_e32 v22, 7, v19
	v_lshrrev_b32_e32 v19, 2, v19
	s_delay_alu instid0(VALU_DEP_2) | instskip(SKIP_4) | instid1(VALU_DEP_4)
	v_cmp_lt_i32_e64 s2, 5, v22
	v_cmp_eq_u32_e64 s3, 3, v22
	v_cndmask_b32_e64 v22, 0, 1, s0
	v_cmp_ne_u32_e64 s0, 0, v5
	v_add_nc_u32_e32 v5, 0xfffffc10, v20
	s_or_b32 s2, s3, s2
	s_delay_alu instid0(VALU_DEP_3) | instskip(SKIP_1) | instid1(VALU_DEP_3)
	v_or_b32_e32 v21, v21, v22
	v_add_co_ci_u32_e64 v19, s2, 0, v19, s2
	v_lshl_or_b32 v20, v5, 12, v3
	v_cmp_gt_i32_e64 s4, 1, v5
	v_cmp_gt_i32_e64 s2, 31, v13
	v_cmp_ne_u32_e64 s3, 0, v3
	s_delay_alu instid0(VALU_DEP_3) | instskip(SKIP_1) | instid1(VALU_DEP_4)
	v_cndmask_b32_e64 v20, v20, v21, s4
	v_cndmask_b32_e64 v21, 0, 1, s0
	;; [unrolled: 1-line block ×3, first 2 shown]
	v_cmp_eq_u32_e64 s0, 0x40f, v13
	s_delay_alu instid0(VALU_DEP_4) | instskip(NEXT) | instid1(VALU_DEP_4)
	v_lshrrev_b32_e32 v3, 2, v20
	v_lshl_or_b32 v21, v21, 9, 0x7c00
	s_delay_alu instid0(VALU_DEP_1) | instskip(SKIP_3) | instid1(VALU_DEP_3)
	v_cndmask_b32_e64 v13, v19, v21, s0
	v_and_b32_e32 v21, 7, v20
	v_cndmask_b32_e64 v20, 0, 1, s3
	v_lshrrev_b32_e32 v19, 16, v23
	v_cmp_lt_i32_e64 s0, 5, v21
	v_cmp_eq_u32_e64 s2, 3, v21
	s_delay_alu instid0(VALU_DEP_4) | instskip(NEXT) | instid1(VALU_DEP_4)
	v_lshl_or_b32 v20, v20, 9, 0x7c00
	v_and_or_b32 v13, 0x8000, v19, v13
	s_delay_alu instid0(VALU_DEP_3) | instskip(NEXT) | instid1(SALU_CYCLE_1)
	s_or_b32 s0, s2, s0
	v_add_co_ci_u32_e64 v3, s0, 0, v3, s0
	v_cmp_gt_i32_e64 s0, 31, v5
	s_delay_alu instid0(VALU_DEP_1) | instskip(SKIP_2) | instid1(VALU_DEP_2)
	v_cndmask_b32_e64 v3, 0x7c00, v3, s0
	v_cmp_eq_u32_e64 s0, 0x40f, v5
	v_lshrrev_b32_e32 v5, 16, v18
	v_cndmask_b32_e64 v3, v3, v20, s0
	v_add_co_u32 v18, s0, v25, s13
	s_delay_alu instid0(VALU_DEP_1) | instskip(NEXT) | instid1(VALU_DEP_3)
	v_add_co_ci_u32_e64 v19, s0, s12, v26, s0
	v_and_or_b32 v3, 0x8000, v5, v3
	v_and_b32_e32 v5, 0xffff, v13
	s_delay_alu instid0(VALU_DEP_1) | instskip(SKIP_2) | instid1(VALU_DEP_1)
	v_lshl_or_b32 v3, v3, 16, v5
	global_store_b32 v[25:26], v3, off
	v_mul_f16_e32 v3, v34, v9
	v_fmac_f16_e32 v3, v32, v14
	s_delay_alu instid0(VALU_DEP_1) | instskip(NEXT) | instid1(VALU_DEP_1)
	v_cvt_f32_f16_e32 v3, v3
	v_cvt_f64_f32_e32 v[13:14], v3
	s_delay_alu instid0(VALU_DEP_1) | instskip(NEXT) | instid1(VALU_DEP_1)
	v_mul_f64 v[13:14], v[13:14], s[10:11]
	v_and_or_b32 v3, 0x1ff, v14, v13
	v_lshrrev_b32_e32 v5, 8, v14
	s_delay_alu instid0(VALU_DEP_2) | instskip(NEXT) | instid1(VALU_DEP_1)
	v_cmp_ne_u32_e64 s0, 0, v3
	v_cndmask_b32_e64 v3, 0, 1, s0
	s_delay_alu instid0(VALU_DEP_1) | instskip(SKIP_1) | instid1(VALU_DEP_2)
	v_and_or_b32 v3, 0xffe, v5, v3
	v_bfe_u32 v5, v14, 20, 11
	v_or_b32_e32 v13, 0x1000, v3
	s_delay_alu instid0(VALU_DEP_2) | instskip(SKIP_2) | instid1(VALU_DEP_3)
	v_sub_nc_u32_e32 v9, 0x3f1, v5
	v_add_nc_u32_e32 v5, 0xfffffc10, v5
	v_cmp_ne_u32_e64 s2, 0, v3
	v_med3_i32 v9, v9, 0, 13
	s_delay_alu instid0(VALU_DEP_1) | instskip(NEXT) | instid1(VALU_DEP_1)
	v_lshrrev_b32_e32 v20, v9, v13
	v_lshlrev_b32_e32 v9, v9, v20
	s_delay_alu instid0(VALU_DEP_1) | instskip(SKIP_1) | instid1(VALU_DEP_2)
	v_cmp_ne_u32_e64 s0, v9, v13
	v_lshl_or_b32 v13, v5, 12, v3
	v_cndmask_b32_e64 v9, 0, 1, s0
	v_cmp_gt_i32_e64 s0, 1, v5
	s_delay_alu instid0(VALU_DEP_2) | instskip(SKIP_1) | instid1(VALU_DEP_2)
	v_or_b32_e32 v9, v20, v9
	v_add_nc_u32_e32 v20, 0xfffffc10, v29
	v_cndmask_b32_e64 v9, v13, v9, s0
	v_cndmask_b32_e64 v13, 0, 1, s1
	s_delay_alu instid0(VALU_DEP_3) | instskip(SKIP_1) | instid1(VALU_DEP_3)
	v_lshl_or_b32 v21, v20, 12, v27
	v_cmp_gt_i32_e64 s0, 1, v20
	v_or_b32_e32 v13, v30, v13
	s_delay_alu instid0(VALU_DEP_1) | instskip(SKIP_1) | instid1(VALU_DEP_2)
	v_cndmask_b32_e64 v13, v21, v13, s0
	v_and_b32_e32 v21, 7, v9
	v_and_b32_e32 v3, 7, v13
	s_delay_alu instid0(VALU_DEP_2) | instskip(SKIP_1) | instid1(VALU_DEP_3)
	v_cmp_lt_i32_e64 s0, 5, v21
	v_cmp_eq_u32_e64 s1, 3, v21
	v_cmp_lt_i32_e64 s3, 5, v3
	v_cmp_eq_u32_e64 s4, 3, v3
	v_lshrrev_b32_e32 v3, 2, v9
	s_delay_alu instid0(VALU_DEP_4) | instskip(SKIP_1) | instid1(VALU_DEP_3)
	s_or_b32 s0, s1, s0
	v_cndmask_b32_e64 v9, 0, 1, s2
	s_or_b32 s1, s4, s3
	s_delay_alu instid0(VALU_DEP_2) | instskip(SKIP_1) | instid1(VALU_DEP_3)
	v_add_co_ci_u32_e64 v3, s0, 0, v3, s0
	v_cmp_gt_i32_e64 s0, 31, v5
	v_lshl_or_b32 v9, v9, 9, 0x7c00
	s_delay_alu instid0(VALU_DEP_2) | instskip(SKIP_2) | instid1(VALU_DEP_2)
	v_cndmask_b32_e64 v3, 0x7c00, v3, s0
	v_cmp_eq_u32_e64 s0, 0x40f, v5
	v_lshrrev_b32_e32 v5, 16, v14
	v_cndmask_b32_e64 v3, v3, v9, s0
	v_lshrrev_b32_e32 v9, 2, v13
	v_cmp_ne_u32_e64 s0, 0, v27
	s_delay_alu instid0(VALU_DEP_3) | instskip(NEXT) | instid1(VALU_DEP_3)
	v_and_or_b32 v3, 0x8000, v5, v3
	v_add_co_ci_u32_e64 v9, s1, 0, v9, s1
	v_cmp_gt_i32_e64 s1, 31, v20
	s_delay_alu instid0(VALU_DEP_4) | instskip(SKIP_2) | instid1(VALU_DEP_4)
	v_cndmask_b32_e64 v13, 0, 1, s0
	v_cmp_eq_u32_e64 s0, 0x40f, v20
	v_and_b32_e32 v3, 0xffff, v3
	v_cndmask_b32_e64 v9, 0x7c00, v9, s1
	s_delay_alu instid0(VALU_DEP_4) | instskip(NEXT) | instid1(VALU_DEP_1)
	v_lshl_or_b32 v13, v13, 9, 0x7c00
	v_cndmask_b32_e64 v9, v9, v13, s0
	v_lshrrev_b32_e32 v13, 16, v28
	v_add_co_u32 v28, s0, v18, s13
	s_delay_alu instid0(VALU_DEP_1) | instskip(NEXT) | instid1(VALU_DEP_3)
	v_add_co_ci_u32_e64 v29, s0, s12, v19, s0
	v_and_or_b32 v5, 0x8000, v13, v9
	ds_load_2addr_b32 v[13:14], v170 offset0:40 offset1:175
	v_lshl_or_b32 v3, v5, 16, v3
	global_store_b32 v[18:19], v3, off
	s_waitcnt lgkmcnt(0)
	v_lshrrev_b32_e32 v5, 16, v13
	v_mul_f16_e32 v3, v41, v13
	s_delay_alu instid0(VALU_DEP_1) | instskip(NEXT) | instid1(VALU_DEP_1)
	v_fma_f16 v3, v38, v5, -v3
	v_cvt_f32_f16_e32 v3, v3
	s_delay_alu instid0(VALU_DEP_1) | instskip(NEXT) | instid1(VALU_DEP_1)
	v_cvt_f64_f32_e32 v[18:19], v3
	v_mul_f64 v[30:31], v[18:19], s[10:11]
	scratch_load_b32 v18, off, off offset:160 ; 4-byte Folded Reload
	v_and_or_b32 v3, 0x1ff, v31, v30
	v_lshrrev_b32_e32 v9, 8, v31
	v_bfe_u32 v34, v31, 20, 11
	s_delay_alu instid0(VALU_DEP_3) | instskip(NEXT) | instid1(VALU_DEP_1)
	v_cmp_ne_u32_e64 s0, 0, v3
	v_cndmask_b32_e64 v3, 0, 1, s0
	s_delay_alu instid0(VALU_DEP_1) | instskip(NEXT) | instid1(VALU_DEP_4)
	v_and_or_b32 v30, 0xffe, v9, v3
	v_sub_nc_u32_e32 v3, 0x3f1, v34
	s_delay_alu instid0(VALU_DEP_2) | instskip(NEXT) | instid1(VALU_DEP_2)
	v_or_b32_e32 v9, 0x1000, v30
	v_med3_i32 v3, v3, 0, 13
	s_delay_alu instid0(VALU_DEP_1) | instskip(NEXT) | instid1(VALU_DEP_1)
	v_lshrrev_b32_e32 v35, v3, v9
	v_lshlrev_b32_e32 v3, v3, v35
	s_delay_alu instid0(VALU_DEP_1) | instskip(SKIP_3) | instid1(VALU_DEP_1)
	v_cmp_ne_u32_e64 s3, v3, v9
	scratch_load_b32 v9, off, off offset:164 ; 4-byte Folded Reload
	v_lshrrev_b32_e32 v3, 16, v2
	s_waitcnt vmcnt(0)
	v_mul_f16_e32 v20, v9, v3
	v_mul_f16_e32 v9, v9, v2
	s_delay_alu instid0(VALU_DEP_2) | instskip(NEXT) | instid1(VALU_DEP_2)
	v_fmac_f16_e32 v20, v18, v2
	v_fma_f16 v36, v18, v3, -v9
	ds_load_2addr_b32 v[2:3], v167 offset0:54 offset1:189
	s_waitcnt lgkmcnt(0)
	v_lshrrev_b32_e32 v27, 16, v3
	v_mul_f16_e32 v9, v40, v3
	s_delay_alu instid0(VALU_DEP_1)
	v_fma_f16 v9, v39, v27, -v9
	v_mul_f16_e32 v27, v40, v27
	scratch_load_b32 v40, off, off offset:76 ; 4-byte Folded Reload
	v_cvt_f32_f16_e32 v9, v9
	v_fmac_f16_e32 v27, v39, v3
	scratch_load_b32 v39, off, off offset:72 ; 4-byte Folded Reload
	v_cvt_f64_f32_e32 v[18:19], v9
	v_cvt_f32_f16_e32 v3, v27
	s_delay_alu instid0(VALU_DEP_2) | instskip(NEXT) | instid1(VALU_DEP_1)
	v_mul_f64 v[18:19], v[18:19], s[10:11]
	v_and_or_b32 v9, 0x1ff, v19, v18
	v_lshrrev_b32_e32 v18, 8, v19
	v_bfe_u32 v22, v19, 20, 11
	v_lshrrev_b32_e32 v19, 16, v19
	s_delay_alu instid0(VALU_DEP_4) | instskip(NEXT) | instid1(VALU_DEP_1)
	v_cmp_ne_u32_e64 s0, 0, v9
	v_cndmask_b32_e64 v9, 0, 1, s0
	s_delay_alu instid0(VALU_DEP_1) | instskip(SKIP_2) | instid1(VALU_DEP_3)
	v_and_or_b32 v9, 0xffe, v18, v9
	v_sub_nc_u32_e32 v18, 0x3f1, v22
	v_add_nc_u32_e32 v22, 0xfffffc10, v22
	v_or_b32_e32 v21, 0x1000, v9
	s_delay_alu instid0(VALU_DEP_3) | instskip(NEXT) | instid1(VALU_DEP_1)
	v_med3_i32 v18, v18, 0, 13
	v_lshrrev_b32_e32 v23, v18, v21
	s_delay_alu instid0(VALU_DEP_1) | instskip(NEXT) | instid1(VALU_DEP_1)
	v_lshlrev_b32_e32 v18, v18, v23
	v_cmp_ne_u32_e64 s0, v18, v21
	v_cvt_f32_f16_e32 v18, v20
	s_delay_alu instid0(VALU_DEP_1) | instskip(NEXT) | instid1(VALU_DEP_1)
	v_cvt_f64_f32_e32 v[20:21], v18
	v_mul_f64 v[20:21], v[20:21], s[10:11]
	s_delay_alu instid0(VALU_DEP_1) | instskip(SKIP_3) | instid1(VALU_DEP_4)
	v_and_or_b32 v18, 0x1ff, v21, v20
	v_lshrrev_b32_e32 v20, 8, v21
	v_bfe_u32 v25, v21, 20, 11
	v_lshrrev_b32_e32 v21, 16, v21
	v_cmp_ne_u32_e64 s1, 0, v18
	s_delay_alu instid0(VALU_DEP_1) | instskip(NEXT) | instid1(VALU_DEP_1)
	v_cndmask_b32_e64 v18, 0, 1, s1
	v_and_or_b32 v20, 0xffe, v20, v18
	v_sub_nc_u32_e32 v18, 0x3f1, v25
	s_delay_alu instid0(VALU_DEP_2) | instskip(NEXT) | instid1(VALU_DEP_2)
	v_or_b32_e32 v32, 0x1000, v20
	v_med3_i32 v18, v18, 0, 13
	s_delay_alu instid0(VALU_DEP_1) | instskip(NEXT) | instid1(VALU_DEP_1)
	v_lshrrev_b32_e32 v26, v18, v32
	v_lshlrev_b32_e32 v18, v18, v26
	s_delay_alu instid0(VALU_DEP_1) | instskip(SKIP_1) | instid1(VALU_DEP_1)
	v_cmp_ne_u32_e64 s1, v18, v32
	v_cvt_f64_f32_e32 v[32:33], v1
	v_mul_f64 v[32:33], v[32:33], s[10:11]
	s_delay_alu instid0(VALU_DEP_1) | instskip(SKIP_1) | instid1(VALU_DEP_2)
	v_and_or_b32 v1, 0x1ff, v33, v32
	v_lshrrev_b32_e32 v7, 8, v33
	v_cmp_ne_u32_e64 s2, 0, v1
	s_delay_alu instid0(VALU_DEP_1) | instskip(NEXT) | instid1(VALU_DEP_1)
	v_cndmask_b32_e64 v1, 0, 1, s2
	v_and_or_b32 v1, 0xffe, v7, v1
	v_bfe_u32 v7, v33, 20, 11
	s_delay_alu instid0(VALU_DEP_2) | instskip(NEXT) | instid1(VALU_DEP_2)
	v_or_b32_e32 v32, 0x1000, v1
	v_sub_nc_u32_e32 v18, 0x3f1, v7
	v_add_nc_u32_e32 v7, 0xfffffc10, v7
	v_cmp_ne_u32_e64 s5, 0, v1
	s_delay_alu instid0(VALU_DEP_3) | instskip(NEXT) | instid1(VALU_DEP_1)
	v_med3_i32 v18, v18, 0, 13
	v_lshrrev_b32_e32 v37, v18, v32
	s_delay_alu instid0(VALU_DEP_1) | instskip(NEXT) | instid1(VALU_DEP_1)
	v_lshlrev_b32_e32 v18, v18, v37
	v_cmp_ne_u32_e64 s2, v18, v32
	v_lshl_or_b32 v32, v7, 12, v1
	v_cndmask_b32_e64 v1, 0, 1, vcc_lo
	v_cmp_gt_i32_e32 vcc_lo, 1, v16
	s_delay_alu instid0(VALU_DEP_4) | instskip(SKIP_1) | instid1(VALU_DEP_4)
	v_cndmask_b32_e64 v18, 0, 1, s2
	v_cmp_gt_i32_e64 s2, 1, v7
	v_or_b32_e32 v1, v24, v1
	v_lshl_or_b32 v24, v16, 12, v11
	s_delay_alu instid0(VALU_DEP_4) | instskip(SKIP_4) | instid1(VALU_DEP_2)
	v_or_b32_e32 v18, v37, v18
	scratch_load_b32 v37, off, off offset:136 ; 4-byte Folded Reload
	v_cndmask_b32_e32 v1, v24, v1, vcc_lo
	v_cndmask_b32_e64 v24, 0, 1, s5
	v_cndmask_b32_e64 v18, v32, v18, s2
	v_lshl_or_b32 v24, v24, 9, 0x7c00
	s_delay_alu instid0(VALU_DEP_2) | instskip(SKIP_1) | instid1(VALU_DEP_2)
	v_and_b32_e32 v32, 7, v18
	v_lshrrev_b32_e32 v18, 2, v18
	v_cmp_lt_i32_e64 s2, 5, v32
	v_cmp_eq_u32_e64 s4, 3, v32
	s_delay_alu instid0(VALU_DEP_1) | instskip(SKIP_3) | instid1(VALU_DEP_3)
	s_or_b32 vcc_lo, s4, s2
	v_cmp_ne_u32_e64 s4, 0, v11
	v_add_co_ci_u32_e32 v18, vcc_lo, 0, v18, vcc_lo
	v_cmp_gt_i32_e32 vcc_lo, 31, v7
	v_cndmask_b32_e64 v11, 0, 1, s4
	s_delay_alu instid0(VALU_DEP_3) | instskip(SKIP_1) | instid1(VALU_DEP_3)
	v_cndmask_b32_e32 v18, 0x7c00, v18, vcc_lo
	v_cmp_eq_u32_e32 vcc_lo, 0x40f, v7
	v_lshl_or_b32 v11, v11, 9, 0x7c00
	s_delay_alu instid0(VALU_DEP_3) | instskip(SKIP_2) | instid1(VALU_DEP_3)
	v_dual_cndmask_b32 v7, v18, v24 :: v_dual_and_b32 v24, 7, v1
	v_lshrrev_b32_e32 v1, 2, v1
	v_lshrrev_b32_e32 v18, 16, v33
	v_cmp_lt_i32_e32 vcc_lo, 5, v24
	v_cmp_eq_u32_e64 s2, 3, v24
	s_delay_alu instid0(VALU_DEP_3) | instskip(NEXT) | instid1(VALU_DEP_2)
	v_and_or_b32 v7, 0x8000, v18, v7
	s_or_b32 vcc_lo, s2, vcc_lo
	s_delay_alu instid0(VALU_DEP_1) | instskip(SKIP_2) | instid1(VALU_DEP_2)
	v_and_b32_e32 v7, 0xffff, v7
	v_add_co_ci_u32_e32 v1, vcc_lo, 0, v1, vcc_lo
	v_cmp_gt_i32_e32 vcc_lo, 31, v16
	v_cndmask_b32_e32 v1, 0x7c00, v1, vcc_lo
	v_cmp_eq_u32_e32 vcc_lo, 0x40f, v16
	s_delay_alu instid0(VALU_DEP_2) | instskip(SKIP_1) | instid1(VALU_DEP_1)
	v_cndmask_b32_e32 v1, v1, v11, vcc_lo
	v_lshrrev_b32_e32 v11, 16, v17
	v_and_or_b32 v1, 0x8000, v11, v1
	s_delay_alu instid0(VALU_DEP_1) | instskip(SKIP_4) | instid1(VALU_DEP_3)
	v_lshl_or_b32 v1, v1, 16, v7
	global_store_b32 v[28:29], v1, off
	v_cvt_f32_f16_e32 v1, v36
	v_add_co_u32 v28, vcc_lo, v28, s13
	v_add_co_ci_u32_e32 v29, vcc_lo, s12, v29, vcc_lo
	v_cvt_f64_f32_e32 v[16:17], v1
	s_delay_alu instid0(VALU_DEP_1) | instskip(NEXT) | instid1(VALU_DEP_1)
	v_mul_f64 v[17:18], v[16:17], s[10:11]
	v_and_or_b32 v1, 0x1ff, v18, v17
	v_lshrrev_b32_e32 v7, 8, v18
	v_bfe_u32 v33, v18, 20, 11
	v_lshrrev_b32_e32 v18, 16, v18
	s_delay_alu instid0(VALU_DEP_4) | instskip(SKIP_1) | instid1(VALU_DEP_1)
	v_cmp_ne_u32_e32 vcc_lo, 0, v1
	v_cndmask_b32_e64 v1, 0, 1, vcc_lo
	v_and_or_b32 v32, 0xffe, v7, v1
	v_sub_nc_u32_e32 v1, 0x3f1, v33
	s_delay_alu instid0(VALU_DEP_2) | instskip(NEXT) | instid1(VALU_DEP_2)
	v_or_b32_e32 v7, 0x1000, v32
	v_med3_i32 v1, v1, 0, 13
	s_delay_alu instid0(VALU_DEP_1) | instskip(NEXT) | instid1(VALU_DEP_1)
	v_lshrrev_b32_e32 v36, v1, v7
	v_lshlrev_b32_e32 v1, v1, v36
	s_delay_alu instid0(VALU_DEP_1) | instskip(SKIP_1) | instid1(VALU_DEP_1)
	v_cmp_ne_u32_e64 s2, v1, v7
	v_mul_f16_e32 v1, v41, v5
	v_fmac_f16_e32 v1, v38, v13
	scratch_load_b32 v38, off, off offset:140 ; 4-byte Folded Reload
	v_cvt_f32_f16_e32 v1, v1
	s_delay_alu instid0(VALU_DEP_1) | instskip(NEXT) | instid1(VALU_DEP_1)
	v_cvt_f64_f32_e32 v[16:17], v1
	v_mul_f64 v[16:17], v[16:17], s[10:11]
	s_delay_alu instid0(VALU_DEP_1) | instskip(SKIP_1) | instid1(VALU_DEP_2)
	v_and_or_b32 v1, 0x1ff, v17, v16
	v_lshrrev_b32_e32 v5, 8, v17
	v_cmp_ne_u32_e32 vcc_lo, 0, v1
	v_cndmask_b32_e64 v1, 0, 1, vcc_lo
	s_delay_alu instid0(VALU_DEP_1) | instskip(SKIP_1) | instid1(VALU_DEP_2)
	v_and_or_b32 v1, 0xffe, v5, v1
	v_bfe_u32 v5, v17, 20, 11
	v_or_b32_e32 v11, 0x1000, v1
	s_delay_alu instid0(VALU_DEP_2) | instskip(SKIP_2) | instid1(VALU_DEP_3)
	v_sub_nc_u32_e32 v7, 0x3f1, v5
	v_add_nc_u32_e32 v5, 0xfffffc10, v5
	v_cmp_ne_u32_e64 s5, 0, v1
	v_med3_i32 v7, v7, 0, 13
	s_delay_alu instid0(VALU_DEP_1) | instskip(NEXT) | instid1(VALU_DEP_1)
	v_lshrrev_b32_e32 v13, v7, v11
	v_lshlrev_b32_e32 v7, v7, v13
	s_delay_alu instid0(VALU_DEP_1) | instskip(SKIP_4) | instid1(VALU_DEP_3)
	v_cmp_ne_u32_e32 vcc_lo, v7, v11
	v_lshl_or_b32 v11, v5, 12, v1
	v_cndmask_b32_e64 v1, 0, 1, s3
	v_cndmask_b32_e64 v7, 0, 1, vcc_lo
	v_cmp_gt_i32_e32 vcc_lo, 1, v5
	v_or_b32_e32 v1, v35, v1
	s_delay_alu instid0(VALU_DEP_3) | instskip(NEXT) | instid1(VALU_DEP_1)
	v_or_b32_e32 v7, v13, v7
	v_cndmask_b32_e32 v7, v11, v7, vcc_lo
	s_delay_alu instid0(VALU_DEP_1) | instskip(SKIP_1) | instid1(VALU_DEP_2)
	v_and_b32_e32 v11, 7, v7
	v_lshrrev_b32_e32 v7, 2, v7
	v_cmp_lt_i32_e32 vcc_lo, 5, v11
	v_cmp_eq_u32_e64 s4, 3, v11
	v_add_nc_u32_e32 v11, 0xfffffc10, v34
	s_delay_alu instid0(VALU_DEP_2) | instskip(NEXT) | instid1(VALU_DEP_1)
	s_or_b32 vcc_lo, s4, vcc_lo
	v_lshl_or_b32 v13, v11, 12, v30
	v_cmp_gt_i32_e64 s3, 1, v11
	v_add_co_ci_u32_e32 v7, vcc_lo, 0, v7, vcc_lo
	v_cmp_gt_i32_e32 vcc_lo, 31, v5
	v_cmp_ne_u32_e64 s4, 0, v30
	s_delay_alu instid0(VALU_DEP_4) | instskip(SKIP_3) | instid1(VALU_DEP_3)
	v_cndmask_b32_e64 v1, v13, v1, s3
	v_cndmask_b32_e64 v13, 0, 1, s5
	v_cndmask_b32_e32 v7, 0x7c00, v7, vcc_lo
	v_cmp_eq_u32_e32 vcc_lo, 0x40f, v5
	v_lshl_or_b32 v13, v13, 9, 0x7c00
	s_delay_alu instid0(VALU_DEP_1) | instskip(SKIP_3) | instid1(VALU_DEP_3)
	v_cndmask_b32_e32 v5, v7, v13, vcc_lo
	v_and_b32_e32 v13, 7, v1
	v_lshrrev_b32_e32 v1, 2, v1
	v_lshrrev_b32_e32 v7, 16, v17
	v_cmp_lt_i32_e32 vcc_lo, 5, v13
	v_cmp_eq_u32_e64 s3, 3, v13
	v_cndmask_b32_e64 v13, 0, 1, s4
	s_delay_alu instid0(VALU_DEP_4)
	v_and_or_b32 v5, 0x8000, v7, v5
	scratch_load_b32 v7, off, off offset:148 ; 4-byte Folded Reload
	s_or_b32 vcc_lo, s3, vcc_lo
	v_lshl_or_b32 v13, v13, 9, 0x7c00
	v_add_co_ci_u32_e32 v1, vcc_lo, 0, v1, vcc_lo
	v_cmp_gt_i32_e32 vcc_lo, 31, v11
	v_and_b32_e32 v5, 0xffff, v5
	s_delay_alu instid0(VALU_DEP_3) | instskip(SKIP_2) | instid1(VALU_DEP_3)
	v_cndmask_b32_e32 v1, 0x7c00, v1, vcc_lo
	v_cmp_eq_u32_e32 vcc_lo, 0x40f, v11
	v_lshrrev_b32_e32 v11, 16, v31
	v_cndmask_b32_e32 v1, v1, v13, vcc_lo
	s_delay_alu instid0(VALU_DEP_1)
	v_and_or_b32 v1, 0x8000, v11, v1
	scratch_load_b32 v11, off, off offset:144 ; 4-byte Folded Reload
	v_lshl_or_b32 v1, v1, 16, v5
	global_store_b32 v[28:29], v1, off
	v_lshrrev_b32_e32 v1, 16, v12
	v_add_co_u32 v28, vcc_lo, v28, s13
	v_add_co_ci_u32_e32 v29, vcc_lo, s12, v29, vcc_lo
	s_waitcnt vmcnt(1)
	s_delay_alu instid0(VALU_DEP_3) | instskip(SKIP_2) | instid1(VALU_DEP_2)
	v_mul_f16_e32 v5, v7, v1
	v_mul_f16_e32 v7, v7, v12
	s_waitcnt vmcnt(0)
	v_fmac_f16_e32 v5, v11, v12
	s_delay_alu instid0(VALU_DEP_2)
	v_fma_f16 v24, v11, v1, -v7
	ds_load_2addr_b32 v[11:12], v153 offset0:28 offset1:163
	v_cvt_f32_f16_e32 v5, v5
	s_waitcnt lgkmcnt(0)
	v_lshrrev_b32_e32 v13, 16, v11
	v_mul_f16_e32 v1, v38, v11
	s_delay_alu instid0(VALU_DEP_1) | instskip(NEXT) | instid1(VALU_DEP_1)
	v_fma_f16 v1, v37, v13, -v1
	v_cvt_f32_f16_e32 v1, v1
	s_delay_alu instid0(VALU_DEP_1) | instskip(NEXT) | instid1(VALU_DEP_1)
	v_cvt_f64_f32_e32 v[16:17], v1
	v_mul_f64 v[16:17], v[16:17], s[10:11]
	s_delay_alu instid0(VALU_DEP_1) | instskip(SKIP_1) | instid1(VALU_DEP_2)
	v_and_or_b32 v1, 0x1ff, v17, v16
	v_lshrrev_b32_e32 v7, 8, v17
	v_cmp_ne_u32_e32 vcc_lo, 0, v1
	v_cndmask_b32_e64 v1, 0, 1, vcc_lo
	s_delay_alu instid0(VALU_DEP_1) | instskip(SKIP_1) | instid1(VALU_DEP_2)
	v_and_or_b32 v1, 0xffe, v7, v1
	v_bfe_u32 v7, v17, 20, 11
	v_or_b32_e32 v31, 0x1000, v1
	s_delay_alu instid0(VALU_DEP_2) | instskip(SKIP_1) | instid1(VALU_DEP_2)
	v_sub_nc_u32_e32 v16, 0x3f1, v7
	v_add_nc_u32_e32 v7, 0xfffffc10, v7
	v_med3_i32 v30, v16, 0, 13
	s_delay_alu instid0(VALU_DEP_1) | instskip(NEXT) | instid1(VALU_DEP_1)
	v_lshrrev_b32_e32 v16, v30, v31
	v_lshlrev_b32_e32 v30, v30, v16
	s_delay_alu instid0(VALU_DEP_1) | instskip(SKIP_1) | instid1(VALU_DEP_1)
	v_cmp_ne_u32_e32 vcc_lo, v30, v31
	v_cvt_f64_f32_e32 v[30:31], v3
	v_mul_f64 v[30:31], v[30:31], s[10:11]
	s_delay_alu instid0(VALU_DEP_1) | instskip(SKIP_1) | instid1(VALU_DEP_2)
	v_and_or_b32 v3, 0x1ff, v31, v30
	v_lshrrev_b32_e32 v27, 8, v31
	v_cmp_ne_u32_e64 s3, 0, v3
	s_delay_alu instid0(VALU_DEP_1) | instskip(NEXT) | instid1(VALU_DEP_1)
	v_cndmask_b32_e64 v3, 0, 1, s3
	v_and_or_b32 v3, 0xffe, v27, v3
	v_bfe_u32 v27, v31, 20, 11
	s_delay_alu instid0(VALU_DEP_2) | instskip(NEXT) | instid1(VALU_DEP_2)
	v_or_b32_e32 v34, 0x1000, v3
	v_sub_nc_u32_e32 v30, 0x3f1, v27
	v_add_nc_u32_e32 v27, 0xfffffc10, v27
	v_cmp_ne_u32_e64 s5, 0, v3
	s_delay_alu instid0(VALU_DEP_3) | instskip(NEXT) | instid1(VALU_DEP_1)
	v_med3_i32 v30, v30, 0, 13
	v_lshrrev_b32_e32 v35, v30, v34
	s_delay_alu instid0(VALU_DEP_1) | instskip(NEXT) | instid1(VALU_DEP_1)
	v_lshlrev_b32_e32 v30, v30, v35
	v_cmp_ne_u32_e64 s3, v30, v34
	v_lshl_or_b32 v34, v27, 12, v3
	v_cndmask_b32_e64 v3, 0, 1, s0
	v_cmp_gt_i32_e64 s0, 1, v22
	s_delay_alu instid0(VALU_DEP_4) | instskip(SKIP_1) | instid1(VALU_DEP_4)
	v_cndmask_b32_e64 v30, 0, 1, s3
	v_cmp_gt_i32_e64 s3, 1, v27
	v_or_b32_e32 v3, v23, v3
	v_lshl_or_b32 v23, v22, 12, v9
	s_delay_alu instid0(VALU_DEP_4) | instskip(SKIP_3) | instid1(VALU_DEP_1)
	v_or_b32_e32 v30, v35, v30
	scratch_load_b32 v35, off, off offset:108 ; 4-byte Folded Reload
	v_cndmask_b32_e64 v3, v23, v3, s0
	v_cndmask_b32_e64 v30, v34, v30, s3
	v_and_b32_e32 v34, 7, v30
	v_lshrrev_b32_e32 v23, 2, v30
	v_cndmask_b32_e64 v30, 0, 1, s5
	s_delay_alu instid0(VALU_DEP_3) | instskip(SKIP_1) | instid1(VALU_DEP_3)
	v_cmp_lt_i32_e64 s3, 5, v34
	v_cmp_eq_u32_e64 s4, 3, v34
	v_lshl_or_b32 v30, v30, 9, 0x7c00
	scratch_load_b32 v34, off, off offset:104 ; 4-byte Folded Reload
	s_or_b32 s0, s4, s3
	v_cmp_ne_u32_e64 s4, 0, v9
	v_add_co_ci_u32_e64 v23, s0, 0, v23, s0
	v_cmp_gt_i32_e64 s0, 31, v27
	v_cndmask_b32_e64 v9, 0, 1, s1
	s_delay_alu instid0(VALU_DEP_2)
	v_cndmask_b32_e64 v23, 0x7c00, v23, s0
	v_cmp_eq_u32_e64 s0, 0x40f, v27
	v_and_b32_e32 v27, 7, v3
	v_lshrrev_b32_e32 v3, 2, v3
	v_or_b32_e32 v9, v26, v9
	v_cndmask_b32_e64 v26, 0, 1, s4
	v_cndmask_b32_e64 v23, v23, v30, s0
	v_cmp_lt_i32_e64 s0, 5, v27
	v_cmp_eq_u32_e64 s3, 3, v27
	v_lshrrev_b32_e32 v27, 16, v31
	v_lshl_or_b32 v26, v26, 9, 0x7c00
	s_delay_alu instid0(VALU_DEP_3) | instskip(NEXT) | instid1(VALU_DEP_2)
	s_or_b32 s0, s3, s0
	v_and_or_b32 v23, 0x8000, v27, v23
	v_add_co_ci_u32_e64 v3, s0, 0, v3, s0
	v_cmp_gt_i32_e64 s0, 31, v22
	v_cmp_ne_u32_e64 s3, 0, v20
	s_delay_alu instid0(VALU_DEP_2) | instskip(SKIP_2) | instid1(VALU_DEP_2)
	v_cndmask_b32_e64 v3, 0x7c00, v3, s0
	v_cmp_eq_u32_e64 s0, 0x40f, v22
	v_add_nc_u32_e32 v22, 0xfffffc10, v25
	v_cndmask_b32_e64 v3, v3, v26, s0
	s_delay_alu instid0(VALU_DEP_2)
	v_lshl_or_b32 v25, v22, 12, v20
	v_cmp_gt_i32_e64 s0, 1, v22
	v_add_nc_u32_e32 v20, 0xfffffc10, v33
	scratch_load_b32 v33, off, off offset:120 ; 4-byte Folded Reload
	v_and_or_b32 v3, 0x8000, v19, v3
	v_cndmask_b32_e64 v9, v25, v9, s0
	s_delay_alu instid0(VALU_DEP_1) | instskip(SKIP_1) | instid1(VALU_DEP_2)
	v_and_b32_e32 v19, 7, v9
	v_lshrrev_b32_e32 v9, 2, v9
	v_cmp_lt_i32_e64 s0, 5, v19
	v_cmp_eq_u32_e64 s1, 3, v19
	v_and_b32_e32 v19, 0xffff, v23
	v_lshl_or_b32 v23, v20, 12, v32
	s_delay_alu instid0(VALU_DEP_3) | instskip(NEXT) | instid1(VALU_DEP_2)
	s_or_b32 s0, s1, s0
	v_lshl_or_b32 v3, v3, 16, v19
	v_cndmask_b32_e64 v19, 0, 1, s2
	v_cmp_gt_i32_e64 s2, 1, v20
	v_add_co_ci_u32_e64 v9, s0, 0, v9, s0
	v_cmp_gt_i32_e64 s0, 31, v22
	s_delay_alu instid0(VALU_DEP_4)
	v_or_b32_e32 v19, v36, v19
	global_store_b32 v[28:29], v3, off
	scratch_load_b32 v36, off, off offset:124 ; 4-byte Folded Reload
	v_cndmask_b32_e64 v9, 0x7c00, v9, s0
	v_cndmask_b32_e64 v19, v23, v19, s2
	v_cndmask_b32_e64 v23, 0, 1, s3
	v_cmp_eq_u32_e64 s0, 0x40f, v22
	v_cmp_ne_u32_e64 s2, 0, v32
	v_cmp_gt_i32_e64 s3, 1, v7
	v_and_b32_e32 v22, 7, v19
	v_lshl_or_b32 v23, v23, 9, 0x7c00
	v_lshrrev_b32_e32 v19, 2, v19
	s_delay_alu instid0(VALU_DEP_3) | instskip(NEXT) | instid1(VALU_DEP_3)
	v_cmp_eq_u32_e64 s1, 3, v22
	v_cndmask_b32_e64 v9, v9, v23, s0
	v_cmp_lt_i32_e64 s0, 5, v22
	v_cndmask_b32_e64 v22, 0, 1, s2
	s_delay_alu instid0(VALU_DEP_3) | instskip(NEXT) | instid1(VALU_DEP_3)
	v_and_or_b32 v9, 0x8000, v21, v9
	s_or_b32 s0, s1, s0
	s_delay_alu instid0(VALU_DEP_2) | instskip(SKIP_3) | instid1(VALU_DEP_2)
	v_lshl_or_b32 v22, v22, 9, 0x7c00
	v_add_co_ci_u32_e64 v19, s0, 0, v19, s0
	v_cmp_gt_i32_e64 s0, 31, v20
	v_and_b32_e32 v9, 0xffff, v9
	v_cndmask_b32_e64 v19, 0x7c00, v19, s0
	v_cmp_eq_u32_e64 s0, 0x40f, v20
	s_delay_alu instid0(VALU_DEP_1)
	v_cndmask_b32_e64 v19, v19, v22, s0
	s_mul_i32 s0, s9, 0xffffc928
	scratch_load_b32 v22, off, off offset:128 ; 4-byte Folded Reload
	s_sub_i32 s9, s0, s8
	v_and_or_b32 v3, 0x8000, v18, v19
	v_mad_u64_u32 v[18:19], null, 0xffffc928, s8, v[28:29]
	s_delay_alu instid0(VALU_DEP_2) | instskip(NEXT) | instid1(VALU_DEP_2)
	v_lshl_or_b32 v3, v3, 16, v9
	v_add_nc_u32_e32 v19, s9, v19
	global_store_b32 v[18:19], v3, off
	v_cvt_f32_f16_e32 v3, v24
	v_add_co_u32 v18, s0, v18, s13
	s_delay_alu instid0(VALU_DEP_1) | instskip(NEXT) | instid1(VALU_DEP_3)
	v_add_co_ci_u32_e64 v19, s0, s12, v19, s0
	v_cvt_f64_f32_e32 v[20:21], v3
	s_delay_alu instid0(VALU_DEP_1) | instskip(NEXT) | instid1(VALU_DEP_1)
	v_mul_f64 v[20:21], v[20:21], s[10:11]
	v_and_or_b32 v3, 0x1ff, v21, v20
	scratch_load_b32 v20, off, off offset:132 ; 4-byte Folded Reload
	v_lshrrev_b32_e32 v9, 8, v21
	v_bfe_u32 v25, v21, 20, 11
	v_lshrrev_b32_e32 v21, 16, v21
	v_cmp_ne_u32_e64 s0, 0, v3
	s_delay_alu instid0(VALU_DEP_1) | instskip(NEXT) | instid1(VALU_DEP_1)
	v_cndmask_b32_e64 v3, 0, 1, s0
	v_and_or_b32 v24, 0xffe, v9, v3
	v_sub_nc_u32_e32 v3, 0x3f1, v25
	s_delay_alu instid0(VALU_DEP_2) | instskip(NEXT) | instid1(VALU_DEP_2)
	v_or_b32_e32 v9, 0x1000, v24
	v_med3_i32 v3, v3, 0, 13
	s_delay_alu instid0(VALU_DEP_1) | instskip(NEXT) | instid1(VALU_DEP_1)
	v_lshrrev_b32_e32 v26, v3, v9
	v_lshlrev_b32_e32 v3, v3, v26
	s_delay_alu instid0(VALU_DEP_1) | instskip(SKIP_2) | instid1(VALU_DEP_1)
	v_cmp_ne_u32_e64 s1, v3, v9
	v_lshrrev_b32_e32 v9, 16, v10
	s_waitcnt vmcnt(0)
	v_mul_f16_e32 v3, v20, v9
	v_mul_f16_e32 v20, v20, v10
	s_delay_alu instid0(VALU_DEP_2) | instskip(NEXT) | instid1(VALU_DEP_2)
	v_fmac_f16_e32 v3, v22, v10
	v_fma_f16 v22, v22, v9, -v20
	v_mul_f16_e32 v9, v38, v13
	scratch_load_b32 v38, off, off offset:92 ; 4-byte Folded Reload
	v_cvt_f32_f16_e32 v3, v3
	v_fmac_f16_e32 v9, v37, v11
	scratch_load_b32 v37, off, off offset:88 ; 4-byte Folded Reload
	v_cvt_f32_f16_e32 v9, v9
	s_delay_alu instid0(VALU_DEP_1) | instskip(NEXT) | instid1(VALU_DEP_1)
	v_cvt_f64_f32_e32 v[9:10], v9
	v_mul_f64 v[9:10], v[9:10], s[10:11]
	s_delay_alu instid0(VALU_DEP_1) | instskip(SKIP_1) | instid1(VALU_DEP_2)
	v_and_or_b32 v9, 0x1ff, v10, v9
	v_lshrrev_b32_e32 v11, 8, v10
	v_cmp_ne_u32_e64 s0, 0, v9
	s_delay_alu instid0(VALU_DEP_1) | instskip(NEXT) | instid1(VALU_DEP_1)
	v_cndmask_b32_e64 v9, 0, 1, s0
	v_and_or_b32 v9, 0xffe, v11, v9
	v_bfe_u32 v11, v10, 20, 11
	v_lshrrev_b32_e32 v10, 16, v10
	s_delay_alu instid0(VALU_DEP_3) | instskip(NEXT) | instid1(VALU_DEP_3)
	v_or_b32_e32 v20, 0x1000, v9
	v_sub_nc_u32_e32 v13, 0x3f1, v11
	v_add_nc_u32_e32 v11, 0xfffffc10, v11
	s_delay_alu instid0(VALU_DEP_2) | instskip(NEXT) | instid1(VALU_DEP_1)
	v_med3_i32 v13, v13, 0, 13
	v_lshrrev_b32_e32 v23, v13, v20
	s_delay_alu instid0(VALU_DEP_1) | instskip(NEXT) | instid1(VALU_DEP_1)
	v_lshlrev_b32_e32 v13, v13, v23
	v_cmp_ne_u32_e64 s0, v13, v20
	v_lshl_or_b32 v20, v11, 12, v9
	s_delay_alu instid0(VALU_DEP_2) | instskip(SKIP_1) | instid1(VALU_DEP_2)
	v_cndmask_b32_e64 v13, 0, 1, s0
	v_cmp_gt_i32_e64 s0, 1, v11
	v_or_b32_e32 v13, v23, v13
	scratch_load_b32 v23, off, off offset:112 ; 4-byte Folded Reload
	v_cndmask_b32_e64 v13, v20, v13, s0
	s_delay_alu instid0(VALU_DEP_1) | instskip(SKIP_1) | instid1(VALU_DEP_2)
	v_and_b32_e32 v20, 7, v13
	v_lshrrev_b32_e32 v13, 2, v13
	v_cmp_lt_i32_e64 s0, 5, v20
	v_cmp_eq_u32_e64 s2, 3, v20
	v_cndmask_b32_e64 v20, 0, 1, vcc_lo
	v_cmp_ne_u32_e32 vcc_lo, 0, v9
	v_lshl_or_b32 v9, v7, 12, v1
	s_delay_alu instid0(VALU_DEP_4) | instskip(NEXT) | instid1(VALU_DEP_3)
	s_or_b32 s0, s2, s0
	v_or_b32_e32 v16, v16, v20
	v_add_co_ci_u32_e64 v13, s0, 0, v13, s0
	v_cmp_gt_i32_e64 s0, 31, v11
	v_cmp_ne_u32_e64 s2, 0, v1
	s_delay_alu instid0(VALU_DEP_4) | instskip(SKIP_3) | instid1(VALU_DEP_4)
	v_cndmask_b32_e64 v9, v9, v16, s3
	v_cndmask_b32_e64 v16, 0, 1, vcc_lo
	v_cmp_eq_u32_e32 vcc_lo, 0x40f, v11
	v_cndmask_b32_e64 v13, 0x7c00, v13, s0
	v_lshrrev_b32_e32 v1, 2, v9
	s_delay_alu instid0(VALU_DEP_4) | instskip(NEXT) | instid1(VALU_DEP_1)
	v_lshl_or_b32 v16, v16, 9, 0x7c00
	v_cndmask_b32_e32 v11, v13, v16, vcc_lo
	v_and_b32_e32 v13, 7, v9
	v_cndmask_b32_e64 v9, 0, 1, s2
	s_delay_alu instid0(VALU_DEP_2) | instskip(SKIP_1) | instid1(VALU_DEP_3)
	v_cmp_lt_i32_e32 vcc_lo, 5, v13
	v_cmp_eq_u32_e64 s0, 3, v13
	v_lshl_or_b32 v9, v9, 9, 0x7c00
	s_delay_alu instid0(VALU_DEP_2) | instskip(SKIP_2) | instid1(VALU_DEP_2)
	s_or_b32 vcc_lo, s0, vcc_lo
	v_add_co_ci_u32_e32 v1, vcc_lo, 0, v1, vcc_lo
	v_cmp_gt_i32_e32 vcc_lo, 31, v7
	v_cndmask_b32_e32 v1, 0x7c00, v1, vcc_lo
	v_cmp_eq_u32_e32 vcc_lo, 0x40f, v7
	v_lshrrev_b32_e32 v7, 16, v17
	ds_load_2addr_b32 v[16:17], v212 offset0:70 offset1:205
	v_cndmask_b32_e32 v1, v1, v9, vcc_lo
	v_and_or_b32 v9, 0x8000, v10, v11
	v_add_co_u32 v10, vcc_lo, v18, s13
	v_add_co_ci_u32_e32 v11, vcc_lo, s12, v19, vcc_lo
	s_delay_alu instid0(VALU_DEP_4) | instskip(NEXT) | instid1(VALU_DEP_4)
	v_and_or_b32 v1, 0x8000, v7, v1
	v_and_b32_e32 v7, 0xffff, v9
	s_delay_alu instid0(VALU_DEP_1) | instskip(SKIP_4) | instid1(VALU_DEP_1)
	v_lshl_or_b32 v1, v1, 16, v7
	global_store_b32 v[18:19], v1, off
	s_waitcnt lgkmcnt(0)
	v_lshrrev_b32_e32 v27, 16, v16
	v_mul_f16_e32 v1, v36, v16
	v_fma_f16 v1, v33, v27, -v1
	s_delay_alu instid0(VALU_DEP_1) | instskip(NEXT) | instid1(VALU_DEP_1)
	v_cvt_f32_f16_e32 v1, v1
	v_cvt_f64_f32_e32 v[18:19], v1
	s_delay_alu instid0(VALU_DEP_1) | instskip(NEXT) | instid1(VALU_DEP_1)
	v_mul_f64 v[19:20], v[18:19], s[10:11]
	v_and_or_b32 v1, 0x1ff, v20, v19
	v_lshrrev_b32_e32 v7, 8, v20
	v_bfe_u32 v29, v20, 20, 11
	s_delay_alu instid0(VALU_DEP_3) | instskip(SKIP_1) | instid1(VALU_DEP_1)
	v_cmp_ne_u32_e32 vcc_lo, 0, v1
	v_cndmask_b32_e64 v1, 0, 1, vcc_lo
	v_and_or_b32 v28, 0xffe, v7, v1
	s_delay_alu instid0(VALU_DEP_4) | instskip(NEXT) | instid1(VALU_DEP_2)
	v_sub_nc_u32_e32 v1, 0x3f1, v29
	v_or_b32_e32 v7, 0x1000, v28
	s_delay_alu instid0(VALU_DEP_2) | instskip(NEXT) | instid1(VALU_DEP_1)
	v_med3_i32 v1, v1, 0, 13
	v_lshrrev_b32_e32 v30, v1, v7
	s_delay_alu instid0(VALU_DEP_1) | instskip(NEXT) | instid1(VALU_DEP_1)
	v_lshlrev_b32_e32 v1, v1, v30
	v_cmp_ne_u32_e64 s0, v1, v7
	v_cvt_f32_f16_e32 v1, v22
	scratch_load_b32 v22, off, off offset:116 ; 4-byte Folded Reload
	v_cvt_f64_f32_e32 v[18:19], v1
	s_delay_alu instid0(VALU_DEP_1) | instskip(NEXT) | instid1(VALU_DEP_1)
	v_mul_f64 v[18:19], v[18:19], s[10:11]
	v_and_or_b32 v1, 0x1ff, v19, v18
	v_lshrrev_b32_e32 v7, 8, v19
	v_bfe_u32 v9, v19, 20, 11
	s_delay_alu instid0(VALU_DEP_3) | instskip(SKIP_1) | instid1(VALU_DEP_1)
	v_cmp_ne_u32_e32 vcc_lo, 0, v1
	v_cndmask_b32_e64 v1, 0, 1, vcc_lo
	v_and_or_b32 v7, 0xffe, v7, v1
	s_delay_alu instid0(VALU_DEP_4) | instskip(NEXT) | instid1(VALU_DEP_2)
	v_sub_nc_u32_e32 v1, 0x3f1, v9
	v_or_b32_e32 v18, 0x1000, v7
	s_delay_alu instid0(VALU_DEP_2) | instskip(NEXT) | instid1(VALU_DEP_1)
	v_med3_i32 v1, v1, 0, 13
	v_lshrrev_b32_e32 v13, v1, v18
	s_delay_alu instid0(VALU_DEP_1) | instskip(NEXT) | instid1(VALU_DEP_1)
	v_lshlrev_b32_e32 v1, v1, v13
	v_cmp_ne_u32_e32 vcc_lo, v1, v18
	v_lshrrev_b32_e32 v18, 16, v15
	s_waitcnt vmcnt(0)
	s_delay_alu instid0(VALU_DEP_1) | instskip(SKIP_1) | instid1(VALU_DEP_2)
	v_mul_f16_e32 v1, v22, v18
	v_mul_f16_e32 v22, v22, v15
	v_fmac_f16_e32 v1, v23, v15
	s_delay_alu instid0(VALU_DEP_2) | instskip(SKIP_1) | instid1(VALU_DEP_3)
	v_fma_f16 v31, v23, v18, -v22
	v_cvt_f64_f32_e32 v[22:23], v5
	v_cvt_f32_f16_e32 v1, v1
	s_delay_alu instid0(VALU_DEP_2) | instskip(NEXT) | instid1(VALU_DEP_1)
	v_mul_f64 v[22:23], v[22:23], s[10:11]
	v_and_or_b32 v5, 0x1ff, v23, v22
	v_lshrrev_b32_e32 v15, 8, v23
	s_delay_alu instid0(VALU_DEP_2) | instskip(NEXT) | instid1(VALU_DEP_1)
	v_cmp_ne_u32_e64 s2, 0, v5
	v_cndmask_b32_e64 v5, 0, 1, s2
	s_delay_alu instid0(VALU_DEP_1) | instskip(SKIP_1) | instid1(VALU_DEP_2)
	v_and_or_b32 v5, 0xffe, v15, v5
	v_bfe_u32 v15, v23, 20, 11
	v_or_b32_e32 v22, 0x1000, v5
	s_delay_alu instid0(VALU_DEP_2) | instskip(SKIP_1) | instid1(VALU_DEP_2)
	v_sub_nc_u32_e32 v18, 0x3f1, v15
	v_add_nc_u32_e32 v15, 0xfffffc10, v15
	v_med3_i32 v18, v18, 0, 13
	s_delay_alu instid0(VALU_DEP_1) | instskip(NEXT) | instid1(VALU_DEP_1)
	v_lshrrev_b32_e32 v32, v18, v22
	v_lshlrev_b32_e32 v18, v18, v32
	s_delay_alu instid0(VALU_DEP_1) | instskip(SKIP_1) | instid1(VALU_DEP_2)
	v_cmp_ne_u32_e64 s2, v18, v22
	v_lshl_or_b32 v22, v15, 12, v5
	v_cndmask_b32_e64 v18, 0, 1, s2
	v_cmp_gt_i32_e64 s2, 1, v15
	s_delay_alu instid0(VALU_DEP_2) | instskip(NEXT) | instid1(VALU_DEP_1)
	v_or_b32_e32 v18, v32, v18
	v_cndmask_b32_e64 v18, v22, v18, s2
	s_delay_alu instid0(VALU_DEP_1) | instskip(SKIP_1) | instid1(VALU_DEP_2)
	v_and_b32_e32 v22, 7, v18
	v_lshrrev_b32_e32 v18, 2, v18
	v_cmp_lt_i32_e64 s2, 5, v22
	v_cmp_eq_u32_e64 s3, 3, v22
	v_cndmask_b32_e64 v22, 0, 1, s1
	v_cmp_ne_u32_e64 s1, 0, v5
	v_add_nc_u32_e32 v5, 0xfffffc10, v25
	s_delay_alu instid0(VALU_DEP_4) | instskip(NEXT) | instid1(VALU_DEP_3)
	s_or_b32 s2, s3, s2
	v_or_b32_e32 v22, v26, v22
	v_add_co_ci_u32_e64 v18, s2, 0, v18, s2
	s_delay_alu instid0(VALU_DEP_3) | instskip(SKIP_3) | instid1(VALU_DEP_3)
	v_lshl_or_b32 v25, v5, 12, v24
	v_cmp_gt_i32_e64 s4, 1, v5
	v_cmp_gt_i32_e64 s2, 31, v15
	v_cmp_ne_u32_e64 s3, 0, v24
	v_cndmask_b32_e64 v22, v25, v22, s4
	v_cndmask_b32_e64 v25, 0, 1, s1
	s_delay_alu instid0(VALU_DEP_4) | instskip(SKIP_1) | instid1(VALU_DEP_3)
	v_cndmask_b32_e64 v18, 0x7c00, v18, s2
	v_cmp_eq_u32_e64 s1, 0x40f, v15
	v_lshl_or_b32 v25, v25, 9, 0x7c00
	s_delay_alu instid0(VALU_DEP_1) | instskip(SKIP_3) | instid1(VALU_DEP_3)
	v_cndmask_b32_e64 v15, v18, v25, s1
	v_lshrrev_b32_e32 v18, 16, v23
	v_and_b32_e32 v23, 7, v22
	v_lshrrev_b32_e32 v22, 2, v22
	v_and_or_b32 v15, 0x8000, v18, v15
	s_delay_alu instid0(VALU_DEP_3) | instskip(SKIP_2) | instid1(VALU_DEP_4)
	v_cmp_lt_i32_e64 s1, 5, v23
	v_cmp_eq_u32_e64 s2, 3, v23
	v_cndmask_b32_e64 v23, 0, 1, s3
	v_and_b32_e32 v15, 0xffff, v15
	s_delay_alu instid0(VALU_DEP_3) | instskip(NEXT) | instid1(VALU_DEP_2)
	s_or_b32 s1, s2, s1
	v_lshl_or_b32 v23, v23, 9, 0x7c00
	v_add_co_ci_u32_e64 v22, s1, 0, v22, s1
	v_cmp_gt_i32_e64 s1, 31, v5
	s_delay_alu instid0(VALU_DEP_1) | instskip(SKIP_1) | instid1(VALU_DEP_1)
	v_cndmask_b32_e64 v22, 0x7c00, v22, s1
	v_cmp_eq_u32_e64 s1, 0x40f, v5
	v_cndmask_b32_e64 v5, v22, v23, s1
	s_delay_alu instid0(VALU_DEP_1) | instskip(SKIP_1) | instid1(VALU_DEP_1)
	v_and_or_b32 v5, 0x8000, v21, v5
	v_add_co_u32 v21, s1, v10, s13
	v_add_co_ci_u32_e64 v22, s1, s12, v11, s1
	s_delay_alu instid0(VALU_DEP_3)
	v_lshl_or_b32 v5, v5, 16, v15
	global_store_b32 v[10:11], v5, off
	ds_load_2addr_b32 v[10:11], v189 offset0:112 offset1:247
	s_waitcnt lgkmcnt(0)
	v_lshrrev_b32_e32 v25, 16, v10
	v_mul_f16_e32 v5, v35, v10
	s_delay_alu instid0(VALU_DEP_1) | instskip(NEXT) | instid1(VALU_DEP_1)
	v_fma_f16 v5, v34, v25, -v5
	v_cvt_f32_f16_e32 v5, v5
	s_delay_alu instid0(VALU_DEP_1) | instskip(NEXT) | instid1(VALU_DEP_1)
	v_cvt_f64_f32_e32 v[23:24], v5
	v_mul_f64 v[23:24], v[23:24], s[10:11]
	s_delay_alu instid0(VALU_DEP_1) | instskip(SKIP_2) | instid1(VALU_DEP_3)
	v_and_or_b32 v5, 0x1ff, v24, v23
	v_lshrrev_b32_e32 v15, 8, v24
	v_bfe_u32 v26, v24, 20, 11
	v_cmp_ne_u32_e64 s1, 0, v5
	s_delay_alu instid0(VALU_DEP_1) | instskip(NEXT) | instid1(VALU_DEP_1)
	v_cndmask_b32_e64 v5, 0, 1, s1
	v_and_or_b32 v23, 0xffe, v15, v5
	s_delay_alu instid0(VALU_DEP_4) | instskip(NEXT) | instid1(VALU_DEP_2)
	v_sub_nc_u32_e32 v5, 0x3f1, v26
	v_or_b32_e32 v15, 0x1000, v23
	s_delay_alu instid0(VALU_DEP_2) | instskip(NEXT) | instid1(VALU_DEP_1)
	v_med3_i32 v5, v5, 0, 13
	v_lshrrev_b32_e32 v32, v5, v15
	s_delay_alu instid0(VALU_DEP_1) | instskip(NEXT) | instid1(VALU_DEP_1)
	v_lshlrev_b32_e32 v5, v5, v32
	v_cmp_ne_u32_e64 s1, v5, v15
	v_mul_f16_e32 v5, v36, v27
	s_delay_alu instid0(VALU_DEP_1) | instskip(NEXT) | instid1(VALU_DEP_1)
	v_fmac_f16_e32 v5, v33, v16
	v_cvt_f32_f16_e32 v5, v5
	s_delay_alu instid0(VALU_DEP_1) | instskip(NEXT) | instid1(VALU_DEP_1)
	v_cvt_f64_f32_e32 v[15:16], v5
	v_mul_f64 v[15:16], v[15:16], s[10:11]
	s_delay_alu instid0(VALU_DEP_1) | instskip(SKIP_1) | instid1(VALU_DEP_2)
	v_and_or_b32 v5, 0x1ff, v16, v15
	v_lshrrev_b32_e32 v15, 8, v16
	v_cmp_ne_u32_e64 s2, 0, v5
	s_delay_alu instid0(VALU_DEP_1) | instskip(NEXT) | instid1(VALU_DEP_1)
	v_cndmask_b32_e64 v5, 0, 1, s2
	v_and_or_b32 v5, 0xffe, v15, v5
	v_bfe_u32 v15, v16, 20, 11
	v_lshrrev_b32_e32 v16, 16, v16
	s_delay_alu instid0(VALU_DEP_3) | instskip(NEXT) | instid1(VALU_DEP_3)
	v_or_b32_e32 v27, 0x1000, v5
	v_sub_nc_u32_e32 v18, 0x3f1, v15
	v_add_nc_u32_e32 v15, 0xfffffc10, v15
	s_delay_alu instid0(VALU_DEP_2) | instskip(NEXT) | instid1(VALU_DEP_1)
	v_med3_i32 v18, v18, 0, 13
	v_lshrrev_b32_e32 v33, v18, v27
	s_delay_alu instid0(VALU_DEP_1) | instskip(NEXT) | instid1(VALU_DEP_1)
	v_lshlrev_b32_e32 v18, v18, v33
	v_cmp_ne_u32_e64 s2, v18, v27
	v_lshl_or_b32 v27, v15, 12, v5
	s_delay_alu instid0(VALU_DEP_2) | instskip(SKIP_1) | instid1(VALU_DEP_2)
	v_cndmask_b32_e64 v18, 0, 1, s2
	v_cmp_gt_i32_e64 s2, 1, v15
	v_or_b32_e32 v18, v33, v18
	s_delay_alu instid0(VALU_DEP_1) | instskip(NEXT) | instid1(VALU_DEP_1)
	v_cndmask_b32_e64 v18, v27, v18, s2
	v_and_b32_e32 v27, 7, v18
	v_lshrrev_b32_e32 v18, 2, v18
	s_delay_alu instid0(VALU_DEP_2) | instskip(SKIP_4) | instid1(VALU_DEP_4)
	v_cmp_lt_i32_e64 s2, 5, v27
	v_cmp_eq_u32_e64 s3, 3, v27
	v_cndmask_b32_e64 v27, 0, 1, s0
	v_cmp_ne_u32_e64 s0, 0, v5
	v_add_nc_u32_e32 v5, 0xfffffc10, v29
	s_or_b32 s2, s3, s2
	s_delay_alu instid0(VALU_DEP_3) | instskip(SKIP_1) | instid1(VALU_DEP_3)
	v_or_b32_e32 v27, v30, v27
	v_add_co_ci_u32_e64 v18, s2, 0, v18, s2
	v_lshl_or_b32 v29, v5, 12, v28
	v_cmp_gt_i32_e64 s4, 1, v5
	v_cmp_gt_i32_e64 s2, 31, v15
	v_cmp_ne_u32_e64 s3, 0, v28
	s_delay_alu instid0(VALU_DEP_3) | instskip(SKIP_1) | instid1(VALU_DEP_4)
	v_cndmask_b32_e64 v27, v29, v27, s4
	v_cndmask_b32_e64 v29, 0, 1, s0
	;; [unrolled: 1-line block ×3, first 2 shown]
	v_cmp_eq_u32_e64 s0, 0x40f, v15
	s_delay_alu instid0(VALU_DEP_3) | instskip(NEXT) | instid1(VALU_DEP_1)
	v_lshl_or_b32 v29, v29, 9, 0x7c00
	v_cndmask_b32_e64 v15, v18, v29, s0
	v_and_b32_e32 v18, 7, v27
	s_delay_alu instid0(VALU_DEP_2) | instskip(NEXT) | instid1(VALU_DEP_2)
	v_and_or_b32 v15, 0x8000, v16, v15
	v_cmp_lt_i32_e64 s0, 5, v18
	v_cmp_eq_u32_e64 s2, 3, v18
	v_lshrrev_b32_e32 v18, 2, v27
	v_cndmask_b32_e64 v27, 0, 1, s3
	v_and_b32_e32 v15, 0xffff, v15
	s_delay_alu instid0(VALU_DEP_4)
	s_or_b32 s0, s2, s0
	s_delay_alu instid0(VALU_DEP_3) | instid1(SALU_CYCLE_1)
	v_add_co_ci_u32_e64 v18, s0, 0, v18, s0
	v_cmp_gt_i32_e64 s0, 31, v5
	v_lshl_or_b32 v27, v27, 9, 0x7c00
	s_delay_alu instid0(VALU_DEP_2) | instskip(SKIP_1) | instid1(VALU_DEP_1)
	v_cndmask_b32_e64 v18, 0x7c00, v18, s0
	v_cmp_eq_u32_e64 s0, 0x40f, v5
	v_cndmask_b32_e64 v5, v18, v27, s0
	v_lshrrev_b32_e32 v18, 16, v20
	s_delay_alu instid0(VALU_DEP_1) | instskip(NEXT) | instid1(VALU_DEP_1)
	v_and_or_b32 v5, 0x8000, v18, v5
	v_lshl_or_b32 v5, v5, 16, v15
	v_add_co_u32 v15, s0, v21, s13
	s_delay_alu instid0(VALU_DEP_1) | instskip(SKIP_2) | instid1(VALU_DEP_1)
	v_add_co_ci_u32_e64 v16, s0, s12, v22, s0
	global_store_b32 v[21:22], v5, off
	v_cvt_f64_f32_e32 v[20:21], v3
	v_mul_f64 v[20:21], v[20:21], s[10:11]
	s_delay_alu instid0(VALU_DEP_1) | instskip(SKIP_1) | instid1(VALU_DEP_2)
	v_and_or_b32 v3, 0x1ff, v21, v20
	v_lshrrev_b32_e32 v5, 8, v21
	v_cmp_ne_u32_e64 s0, 0, v3
	s_delay_alu instid0(VALU_DEP_1) | instskip(NEXT) | instid1(VALU_DEP_1)
	v_cndmask_b32_e64 v3, 0, 1, s0
	v_and_or_b32 v3, 0xffe, v5, v3
	v_bfe_u32 v5, v21, 20, 11
	s_delay_alu instid0(VALU_DEP_2) | instskip(NEXT) | instid1(VALU_DEP_2)
	v_or_b32_e32 v20, 0x1000, v3
	v_sub_nc_u32_e32 v18, 0x3f1, v5
	v_add_nc_u32_e32 v5, 0xfffffc10, v5
	s_delay_alu instid0(VALU_DEP_2) | instskip(NEXT) | instid1(VALU_DEP_1)
	v_med3_i32 v18, v18, 0, 13
	v_lshrrev_b32_e32 v22, v18, v20
	s_delay_alu instid0(VALU_DEP_1) | instskip(NEXT) | instid1(VALU_DEP_1)
	v_lshlrev_b32_e32 v18, v18, v22
	v_cmp_ne_u32_e64 s0, v18, v20
	v_lshl_or_b32 v20, v5, 12, v3
	s_delay_alu instid0(VALU_DEP_2) | instskip(SKIP_1) | instid1(VALU_DEP_2)
	v_cndmask_b32_e64 v18, 0, 1, s0
	v_cmp_gt_i32_e64 s0, 1, v5
	v_or_b32_e32 v18, v22, v18
	s_delay_alu instid0(VALU_DEP_1) | instskip(NEXT) | instid1(VALU_DEP_1)
	v_cndmask_b32_e64 v18, v20, v18, s0
	v_and_b32_e32 v20, 7, v18
	s_delay_alu instid0(VALU_DEP_1) | instskip(SKIP_4) | instid1(VALU_DEP_4)
	v_cmp_lt_i32_e64 s0, 5, v20
	v_cmp_eq_u32_e64 s2, 3, v20
	v_cndmask_b32_e64 v20, 0, 1, vcc_lo
	v_cmp_ne_u32_e32 vcc_lo, 0, v3
	v_add_nc_u32_e32 v3, 0xfffffc10, v9
	s_or_b32 s0, s2, s0
	s_delay_alu instid0(VALU_DEP_3) | instskip(SKIP_1) | instid1(VALU_DEP_3)
	v_or_b32_e32 v13, v13, v20
	v_cmp_ne_u32_e64 s2, 0, v7
	v_lshl_or_b32 v9, v3, 12, v7
	v_cmp_gt_i32_e64 s3, 1, v3
	v_lshrrev_b32_e32 v7, 16, v21
	scratch_load_b32 v20, off, off offset:96 ; 4-byte Folded Reload
	v_cndmask_b32_e64 v9, v9, v13, s3
	v_lshrrev_b32_e32 v13, 2, v18
	v_cndmask_b32_e64 v18, 0, 1, vcc_lo
	v_cmp_eq_u32_e32 vcc_lo, 0x40f, v5
	s_delay_alu instid0(VALU_DEP_3) | instskip(SKIP_1) | instid1(VALU_DEP_4)
	v_add_co_ci_u32_e64 v13, s0, 0, v13, s0
	v_cmp_gt_i32_e64 s0, 31, v5
	v_lshl_or_b32 v18, v18, 9, 0x7c00
	s_delay_alu instid0(VALU_DEP_2) | instskip(NEXT) | instid1(VALU_DEP_1)
	v_cndmask_b32_e64 v13, 0x7c00, v13, s0
	v_cndmask_b32_e32 v5, v13, v18, vcc_lo
	v_and_b32_e32 v13, 7, v9
	v_lshrrev_b32_e32 v9, 2, v9
	s_delay_alu instid0(VALU_DEP_3) | instskip(NEXT) | instid1(VALU_DEP_3)
	v_and_or_b32 v5, 0x8000, v7, v5
	v_cmp_lt_i32_e32 vcc_lo, 5, v13
	v_cmp_eq_u32_e64 s0, 3, v13
	v_cndmask_b32_e64 v13, 0, 1, s2
	s_delay_alu instid0(VALU_DEP_4) | instskip(NEXT) | instid1(VALU_DEP_3)
	v_and_b32_e32 v5, 0xffff, v5
	s_or_b32 vcc_lo, s0, vcc_lo
	s_delay_alu instid0(VALU_DEP_2) | instskip(SKIP_2) | instid1(VALU_DEP_2)
	v_lshl_or_b32 v13, v13, 9, 0x7c00
	v_add_co_ci_u32_e32 v9, vcc_lo, 0, v9, vcc_lo
	v_cmp_gt_i32_e32 vcc_lo, 31, v3
	v_cndmask_b32_e32 v9, 0x7c00, v9, vcc_lo
	v_cmp_eq_u32_e32 vcc_lo, 0x40f, v3
	s_delay_alu instid0(VALU_DEP_2) | instskip(SKIP_3) | instid1(VALU_DEP_3)
	v_cndmask_b32_e32 v3, v9, v13, vcc_lo
	v_lshrrev_b32_e32 v9, 16, v19
	v_add_co_u32 v18, vcc_lo, v15, s13
	v_add_co_ci_u32_e32 v19, vcc_lo, s12, v16, vcc_lo
	v_and_or_b32 v3, 0x8000, v9, v3
	s_delay_alu instid0(VALU_DEP_1) | instskip(SKIP_2) | instid1(VALU_DEP_1)
	v_lshl_or_b32 v3, v3, 16, v5
	global_store_b32 v[15:16], v3, off
	v_cvt_f32_f16_e32 v3, v31
	v_cvt_f64_f32_e32 v[15:16], v3
	s_delay_alu instid0(VALU_DEP_1) | instskip(NEXT) | instid1(VALU_DEP_1)
	v_mul_f64 v[15:16], v[15:16], s[10:11]
	v_and_or_b32 v3, 0x1ff, v16, v15
	scratch_load_b32 v15, off, off offset:100 ; 4-byte Folded Reload
	v_lshrrev_b32_e32 v5, 8, v16
	v_bfe_u32 v7, v16, 20, 11
	v_cmp_ne_u32_e32 vcc_lo, 0, v3
	v_cndmask_b32_e64 v3, 0, 1, vcc_lo
	s_delay_alu instid0(VALU_DEP_1) | instskip(NEXT) | instid1(VALU_DEP_4)
	v_and_or_b32 v5, 0xffe, v5, v3
	v_sub_nc_u32_e32 v3, 0x3f1, v7
	s_delay_alu instid0(VALU_DEP_2) | instskip(NEXT) | instid1(VALU_DEP_2)
	v_or_b32_e32 v9, 0x1000, v5
	v_med3_i32 v3, v3, 0, 13
	s_delay_alu instid0(VALU_DEP_1) | instskip(NEXT) | instid1(VALU_DEP_1)
	v_lshrrev_b32_e32 v13, v3, v9
	v_lshlrev_b32_e32 v3, v3, v13
	s_delay_alu instid0(VALU_DEP_1) | instskip(SKIP_2) | instid1(VALU_DEP_1)
	v_cmp_ne_u32_e32 vcc_lo, v3, v9
	v_lshrrev_b32_e32 v9, 16, v14
	s_waitcnt vmcnt(0)
	v_mul_f16_e32 v3, v15, v9
	v_mul_f16_e32 v15, v15, v14
	s_delay_alu instid0(VALU_DEP_2) | instskip(NEXT) | instid1(VALU_DEP_2)
	v_fmac_f16_e32 v3, v20, v14
	v_fma_f16 v20, v20, v9, -v15
	v_mul_f16_e32 v9, v35, v25
	s_delay_alu instid0(VALU_DEP_3) | instskip(NEXT) | instid1(VALU_DEP_3)
	v_cvt_f32_f16_e32 v3, v3
	v_cvt_f32_f16_e32 v20, v20
	s_delay_alu instid0(VALU_DEP_3) | instskip(NEXT) | instid1(VALU_DEP_1)
	v_fmac_f16_e32 v9, v34, v10
	v_cvt_f32_f16_e32 v9, v9
	s_delay_alu instid0(VALU_DEP_1) | instskip(NEXT) | instid1(VALU_DEP_1)
	v_cvt_f64_f32_e32 v[9:10], v9
	v_mul_f64 v[9:10], v[9:10], s[10:11]
	s_delay_alu instid0(VALU_DEP_1) | instskip(SKIP_1) | instid1(VALU_DEP_2)
	v_and_or_b32 v9, 0x1ff, v10, v9
	v_lshrrev_b32_e32 v14, 8, v10
	v_cmp_ne_u32_e64 s0, 0, v9
	s_delay_alu instid0(VALU_DEP_1) | instskip(NEXT) | instid1(VALU_DEP_1)
	v_cndmask_b32_e64 v9, 0, 1, s0
	v_and_or_b32 v9, 0xffe, v14, v9
	v_bfe_u32 v14, v10, 20, 11
	v_lshrrev_b32_e32 v10, 16, v10
	s_delay_alu instid0(VALU_DEP_3) | instskip(NEXT) | instid1(VALU_DEP_3)
	v_or_b32_e32 v21, 0x1000, v9
	v_sub_nc_u32_e32 v15, 0x3f1, v14
	v_add_nc_u32_e32 v14, 0xfffffc10, v14
	s_delay_alu instid0(VALU_DEP_2) | instskip(NEXT) | instid1(VALU_DEP_1)
	v_med3_i32 v15, v15, 0, 13
	v_lshrrev_b32_e32 v22, v15, v21
	s_delay_alu instid0(VALU_DEP_1) | instskip(NEXT) | instid1(VALU_DEP_1)
	v_lshlrev_b32_e32 v15, v15, v22
	v_cmp_ne_u32_e64 s0, v15, v21
	v_lshl_or_b32 v21, v14, 12, v9
	s_delay_alu instid0(VALU_DEP_2) | instskip(SKIP_1) | instid1(VALU_DEP_2)
	v_cndmask_b32_e64 v15, 0, 1, s0
	v_cmp_gt_i32_e64 s0, 1, v14
	v_or_b32_e32 v15, v22, v15
	s_delay_alu instid0(VALU_DEP_1) | instskip(NEXT) | instid1(VALU_DEP_1)
	v_cndmask_b32_e64 v15, v21, v15, s0
	v_and_b32_e32 v21, 7, v15
	v_lshrrev_b32_e32 v15, 2, v15
	s_delay_alu instid0(VALU_DEP_2) | instskip(SKIP_4) | instid1(VALU_DEP_4)
	v_cmp_lt_i32_e64 s0, 5, v21
	v_cmp_eq_u32_e64 s2, 3, v21
	v_cndmask_b32_e64 v21, 0, 1, s1
	v_cmp_ne_u32_e64 s1, 0, v9
	v_add_nc_u32_e32 v9, 0xfffffc10, v26
	s_or_b32 s0, s2, s0
	s_delay_alu instid0(VALU_DEP_3) | instskip(SKIP_1) | instid1(VALU_DEP_3)
	v_or_b32_e32 v21, v32, v21
	v_add_co_ci_u32_e64 v15, s0, 0, v15, s0
	v_lshl_or_b32 v22, v9, 12, v23
	v_cmp_gt_i32_e64 s3, 1, v9
	v_cmp_gt_i32_e64 s0, 31, v14
	v_cmp_ne_u32_e64 s2, 0, v23
	scratch_load_b32 v23, off, off offset:80 ; 4-byte Folded Reload
	v_cndmask_b32_e64 v21, v22, v21, s3
	v_cndmask_b32_e64 v22, 0, 1, s1
	;; [unrolled: 1-line block ×3, first 2 shown]
	v_cmp_eq_u32_e64 s0, 0x40f, v14
	s_delay_alu instid0(VALU_DEP_3) | instskip(NEXT) | instid1(VALU_DEP_1)
	v_lshl_or_b32 v22, v22, 9, 0x7c00
	v_cndmask_b32_e64 v14, v15, v22, s0
	v_and_b32_e32 v15, 7, v21
	s_delay_alu instid0(VALU_DEP_2) | instskip(NEXT) | instid1(VALU_DEP_2)
	v_and_or_b32 v10, 0x8000, v10, v14
	v_cmp_lt_i32_e64 s0, 5, v15
	v_cmp_eq_u32_e64 s1, 3, v15
	v_lshrrev_b32_e32 v15, 2, v21
	v_cndmask_b32_e64 v21, 0, 1, s2
	v_and_b32_e32 v10, 0xffff, v10
	s_delay_alu instid0(VALU_DEP_4)
	s_or_b32 s0, s1, s0
	s_delay_alu instid0(VALU_DEP_3) | instid1(SALU_CYCLE_1)
	v_add_co_ci_u32_e64 v15, s0, 0, v15, s0
	v_cmp_gt_i32_e64 s0, 31, v9
	v_lshl_or_b32 v21, v21, 9, 0x7c00
	s_delay_alu instid0(VALU_DEP_2) | instskip(SKIP_1) | instid1(VALU_DEP_1)
	v_cndmask_b32_e64 v15, 0x7c00, v15, s0
	v_cmp_eq_u32_e64 s0, 0x40f, v9
	v_cndmask_b32_e64 v9, v15, v21, s0
	v_lshrrev_b32_e32 v15, 16, v24
	v_add_co_u32 v14, s0, v18, s13
	s_delay_alu instid0(VALU_DEP_2) | instskip(SKIP_1) | instid1(VALU_DEP_2)
	v_and_or_b32 v9, 0x8000, v15, v9
	v_add_co_ci_u32_e64 v15, s0, s12, v19, s0
	v_lshl_or_b32 v9, v9, 16, v10
	global_store_b32 v[18:19], v9, off
	ds_load_2addr_b32 v[9:10], v179 offset0:26 offset1:161
	s_waitcnt lgkmcnt(0)
	v_lshrrev_b32_e32 v29, 16, v9
	v_mul_f16_e32 v18, v38, v9
	s_delay_alu instid0(VALU_DEP_1) | instskip(NEXT) | instid1(VALU_DEP_1)
	v_fma_f16 v18, v37, v29, -v18
	v_cvt_f32_f16_e32 v18, v18
	s_delay_alu instid0(VALU_DEP_1) | instskip(NEXT) | instid1(VALU_DEP_1)
	v_cvt_f64_f32_e32 v[18:19], v18
	v_mul_f64 v[18:19], v[18:19], s[10:11]
	s_delay_alu instid0(VALU_DEP_1) | instskip(SKIP_2) | instid1(VALU_DEP_3)
	v_and_or_b32 v18, 0x1ff, v19, v18
	v_lshrrev_b32_e32 v21, 8, v19
	v_bfe_u32 v26, v19, 20, 11
	v_cmp_ne_u32_e64 s0, 0, v18
	s_delay_alu instid0(VALU_DEP_1) | instskip(NEXT) | instid1(VALU_DEP_1)
	v_cndmask_b32_e64 v18, 0, 1, s0
	v_and_or_b32 v18, 0xffe, v21, v18
	s_delay_alu instid0(VALU_DEP_4) | instskip(NEXT) | instid1(VALU_DEP_2)
	v_sub_nc_u32_e32 v21, 0x3f1, v26
	v_or_b32_e32 v22, 0x1000, v18
	s_delay_alu instid0(VALU_DEP_2) | instskip(NEXT) | instid1(VALU_DEP_1)
	v_med3_i32 v21, v21, 0, 13
	v_lshrrev_b32_e32 v28, v21, v22
	s_delay_alu instid0(VALU_DEP_1) | instskip(NEXT) | instid1(VALU_DEP_1)
	v_lshlrev_b32_e32 v21, v21, v28
	v_cmp_ne_u32_e64 s0, v21, v22
	v_cvt_f64_f32_e32 v[20:21], v20
	s_delay_alu instid0(VALU_DEP_1) | instskip(NEXT) | instid1(VALU_DEP_1)
	v_mul_f64 v[20:21], v[20:21], s[10:11]
	v_and_or_b32 v20, 0x1ff, v21, v20
	v_lshrrev_b32_e32 v22, 8, v21
	v_bfe_u32 v30, v21, 20, 11
	s_delay_alu instid0(VALU_DEP_3) | instskip(NEXT) | instid1(VALU_DEP_1)
	v_cmp_ne_u32_e64 s1, 0, v20
	v_cndmask_b32_e64 v20, 0, 1, s1
	s_delay_alu instid0(VALU_DEP_1) | instskip(NEXT) | instid1(VALU_DEP_4)
	v_and_or_b32 v27, 0xffe, v22, v20
	v_sub_nc_u32_e32 v20, 0x3f1, v30
	s_delay_alu instid0(VALU_DEP_2) | instskip(NEXT) | instid1(VALU_DEP_2)
	v_or_b32_e32 v22, 0x1000, v27
	v_med3_i32 v20, v20, 0, 13
	s_delay_alu instid0(VALU_DEP_1) | instskip(NEXT) | instid1(VALU_DEP_1)
	v_lshrrev_b32_e32 v31, v20, v22
	v_lshlrev_b32_e32 v20, v20, v31
	s_delay_alu instid0(VALU_DEP_1) | instskip(SKIP_3) | instid1(VALU_DEP_1)
	v_cmp_ne_u32_e64 s2, v20, v22
	scratch_load_b32 v22, off, off offset:84 ; 4-byte Folded Reload
	v_lshrrev_b32_e32 v20, 16, v8
	s_waitcnt vmcnt(0)
	v_mul_f16_e32 v24, v22, v20
	v_mul_f16_e32 v22, v22, v8
	s_delay_alu instid0(VALU_DEP_2) | instskip(NEXT) | instid1(VALU_DEP_2)
	v_fmac_f16_e32 v24, v23, v8
	v_fma_f16 v34, v23, v20, -v22
	v_cvt_f64_f32_e32 v[22:23], v1
	s_delay_alu instid0(VALU_DEP_1) | instskip(NEXT) | instid1(VALU_DEP_1)
	v_mul_f64 v[22:23], v[22:23], s[10:11]
	v_and_or_b32 v1, 0x1ff, v23, v22
	v_lshrrev_b32_e32 v8, 8, v23
	s_delay_alu instid0(VALU_DEP_2) | instskip(NEXT) | instid1(VALU_DEP_1)
	v_cmp_ne_u32_e64 s1, 0, v1
	v_cndmask_b32_e64 v1, 0, 1, s1
	s_delay_alu instid0(VALU_DEP_1) | instskip(SKIP_1) | instid1(VALU_DEP_2)
	v_and_or_b32 v1, 0xffe, v8, v1
	v_bfe_u32 v8, v23, 20, 11
	v_or_b32_e32 v22, 0x1000, v1
	s_delay_alu instid0(VALU_DEP_2) | instskip(SKIP_1) | instid1(VALU_DEP_2)
	v_sub_nc_u32_e32 v20, 0x3f1, v8
	v_add_nc_u32_e32 v8, 0xfffffc10, v8
	v_med3_i32 v20, v20, 0, 13
	s_delay_alu instid0(VALU_DEP_1) | instskip(NEXT) | instid1(VALU_DEP_1)
	v_lshrrev_b32_e32 v25, v20, v22
	v_lshlrev_b32_e32 v20, v20, v25
	s_delay_alu instid0(VALU_DEP_1) | instskip(SKIP_1) | instid1(VALU_DEP_2)
	v_cmp_ne_u32_e64 s1, v20, v22
	v_lshl_or_b32 v22, v8, 12, v1
	v_cndmask_b32_e64 v20, 0, 1, s1
	v_cmp_gt_i32_e64 s1, 1, v8
	s_delay_alu instid0(VALU_DEP_2) | instskip(NEXT) | instid1(VALU_DEP_1)
	v_or_b32_e32 v20, v25, v20
	v_cndmask_b32_e64 v20, v22, v20, s1
	s_delay_alu instid0(VALU_DEP_1) | instskip(NEXT) | instid1(VALU_DEP_1)
	v_and_b32_e32 v22, 7, v20
	v_cmp_lt_i32_e64 s1, 5, v22
	v_cmp_eq_u32_e64 s3, 3, v22
	v_cndmask_b32_e64 v22, 0, 1, vcc_lo
	v_cmp_ne_u32_e32 vcc_lo, 0, v1
	v_add_nc_u32_e32 v1, 0xfffffc10, v7
	s_delay_alu instid0(VALU_DEP_4) | instskip(NEXT) | instid1(VALU_DEP_3)
	s_or_b32 s1, s3, s1
	v_or_b32_e32 v13, v13, v22
	v_cmp_ne_u32_e64 s3, 0, v5
	s_delay_alu instid0(VALU_DEP_3) | instskip(SKIP_1) | instid1(VALU_DEP_1)
	v_lshl_or_b32 v7, v1, 12, v5
	v_cmp_gt_i32_e64 s4, 1, v1
	v_cndmask_b32_e64 v7, v7, v13, s4
	v_lshrrev_b32_e32 v13, 2, v20
	v_cndmask_b32_e64 v20, 0, 1, vcc_lo
	v_cmp_eq_u32_e32 vcc_lo, 0x40f, v8
	s_delay_alu instid0(VALU_DEP_4) | instskip(NEXT) | instid1(VALU_DEP_4)
	v_lshrrev_b32_e32 v5, 2, v7
	v_add_co_ci_u32_e64 v13, s1, 0, v13, s1
	v_cmp_gt_i32_e64 s1, 31, v8
	v_lshl_or_b32 v20, v20, 9, 0x7c00
	s_delay_alu instid0(VALU_DEP_2) | instskip(NEXT) | instid1(VALU_DEP_1)
	v_cndmask_b32_e64 v13, 0x7c00, v13, s1
	v_cndmask_b32_e32 v8, v13, v20, vcc_lo
	v_and_b32_e32 v20, 7, v7
	v_cndmask_b32_e64 v7, 0, 1, s3
	v_lshrrev_b32_e32 v13, 16, v23
	s_delay_alu instid0(VALU_DEP_3) | instskip(SKIP_1) | instid1(VALU_DEP_4)
	v_cmp_lt_i32_e32 vcc_lo, 5, v20
	v_cmp_eq_u32_e64 s1, 3, v20
	v_lshl_or_b32 v7, v7, 9, 0x7c00
	s_delay_alu instid0(VALU_DEP_2) | instskip(SKIP_2) | instid1(VALU_DEP_2)
	s_or_b32 vcc_lo, s1, vcc_lo
	v_add_co_ci_u32_e32 v5, vcc_lo, 0, v5, vcc_lo
	v_cmp_gt_i32_e32 vcc_lo, 31, v1
	v_cndmask_b32_e32 v5, 0x7c00, v5, vcc_lo
	v_cmp_eq_u32_e32 vcc_lo, 0x40f, v1
	s_delay_alu instid0(VALU_DEP_2) | instskip(SKIP_4) | instid1(VALU_DEP_4)
	v_cndmask_b32_e32 v1, v5, v7, vcc_lo
	v_lshrrev_b32_e32 v5, 16, v16
	v_and_or_b32 v7, 0x8000, v13, v8
	v_add_co_u32 v32, vcc_lo, v14, s13
	v_add_co_ci_u32_e32 v33, vcc_lo, s12, v15, vcc_lo
	v_and_or_b32 v1, 0x8000, v5, v1
	s_delay_alu instid0(VALU_DEP_4)
	v_and_b32_e32 v5, 0xffff, v7
	ds_load_2addr_b32 v[7:8], v156 offset0:68 offset1:203
	v_lshl_or_b32 v1, v1, 16, v5
	global_store_b32 v[14:15], v1, off
	scratch_load_b32 v15, off, off offset:64 ; 4-byte Folded Reload
	s_waitcnt lgkmcnt(0)
	v_lshrrev_b32_e32 v23, 16, v7
	v_mul_f16_e32 v1, v40, v7
	s_delay_alu instid0(VALU_DEP_1) | instskip(SKIP_1) | instid1(VALU_DEP_2)
	v_fma_f16 v1, v39, v23, -v1
	v_mul_f16_e32 v23, v40, v23
	v_cvt_f32_f16_e32 v1, v1
	s_delay_alu instid0(VALU_DEP_2) | instskip(NEXT) | instid1(VALU_DEP_2)
	v_fmac_f16_e32 v23, v39, v7
	v_cvt_f64_f32_e32 v[13:14], v1
	s_delay_alu instid0(VALU_DEP_2) | instskip(NEXT) | instid1(VALU_DEP_2)
	v_cvt_f32_f16_e32 v7, v23
	v_mul_f64 v[13:14], v[13:14], s[10:11]
	s_delay_alu instid0(VALU_DEP_1) | instskip(SKIP_3) | instid1(VALU_DEP_4)
	v_and_or_b32 v1, 0x1ff, v14, v13
	v_lshrrev_b32_e32 v5, 8, v14
	v_bfe_u32 v20, v14, 20, 11
	v_lshrrev_b32_e32 v14, 16, v14
	v_cmp_ne_u32_e32 vcc_lo, 0, v1
	v_cndmask_b32_e64 v1, 0, 1, vcc_lo
	s_delay_alu instid0(VALU_DEP_1) | instskip(SKIP_1) | instid1(VALU_DEP_2)
	v_and_or_b32 v1, 0xffe, v5, v1
	v_sub_nc_u32_e32 v5, 0x3f1, v20
	v_or_b32_e32 v13, 0x1000, v1
	s_delay_alu instid0(VALU_DEP_2) | instskip(NEXT) | instid1(VALU_DEP_1)
	v_med3_i32 v5, v5, 0, 13
	v_lshrrev_b32_e32 v22, v5, v13
	s_delay_alu instid0(VALU_DEP_1) | instskip(NEXT) | instid1(VALU_DEP_1)
	v_lshlrev_b32_e32 v5, v5, v22
	v_cmp_ne_u32_e32 vcc_lo, v5, v13
	scratch_load_b32 v13, off, off offset:68 ; 4-byte Folded Reload
	v_lshrrev_b32_e32 v5, 16, v12
	s_waitcnt vmcnt(0)
	s_delay_alu instid0(VALU_DEP_1) | instskip(SKIP_1) | instid1(VALU_DEP_2)
	v_mul_f16_e32 v35, v13, v5
	v_mul_f16_e32 v13, v13, v12
	v_fmac_f16_e32 v35, v15, v12
	s_delay_alu instid0(VALU_DEP_2) | instskip(SKIP_1) | instid1(VALU_DEP_1)
	v_fma_f16 v36, v15, v5, -v13
	v_cvt_f32_f16_e32 v5, v24
	v_cvt_f64_f32_e32 v[12:13], v5
	s_delay_alu instid0(VALU_DEP_1) | instskip(NEXT) | instid1(VALU_DEP_1)
	v_mul_f64 v[15:16], v[12:13], s[10:11]
	v_and_or_b32 v5, 0x1ff, v16, v15
	v_lshrrev_b32_e32 v12, 8, v16
	v_bfe_u32 v24, v16, 20, 11
	v_lshrrev_b32_e32 v16, 16, v16
	s_delay_alu instid0(VALU_DEP_4) | instskip(NEXT) | instid1(VALU_DEP_1)
	v_cmp_ne_u32_e64 s1, 0, v5
	v_cndmask_b32_e64 v5, 0, 1, s1
	s_delay_alu instid0(VALU_DEP_1) | instskip(SKIP_1) | instid1(VALU_DEP_2)
	v_and_or_b32 v15, 0xffe, v12, v5
	v_sub_nc_u32_e32 v5, 0x3f1, v24
	v_or_b32_e32 v12, 0x1000, v15
	s_delay_alu instid0(VALU_DEP_2) | instskip(NEXT) | instid1(VALU_DEP_1)
	v_med3_i32 v5, v5, 0, 13
	v_lshrrev_b32_e32 v25, v5, v12
	s_delay_alu instid0(VALU_DEP_1) | instskip(NEXT) | instid1(VALU_DEP_1)
	v_lshlrev_b32_e32 v5, v5, v25
	v_cmp_ne_u32_e64 s1, v5, v12
	v_mul_f16_e32 v5, v38, v29
	s_delay_alu instid0(VALU_DEP_1) | instskip(NEXT) | instid1(VALU_DEP_1)
	v_fmac_f16_e32 v5, v37, v9
	v_cvt_f32_f16_e32 v5, v5
	s_delay_alu instid0(VALU_DEP_1) | instskip(NEXT) | instid1(VALU_DEP_1)
	v_cvt_f64_f32_e32 v[12:13], v5
	v_mul_f64 v[12:13], v[12:13], s[10:11]
	s_delay_alu instid0(VALU_DEP_1) | instskip(SKIP_1) | instid1(VALU_DEP_2)
	v_and_or_b32 v5, 0x1ff, v13, v12
	v_lshrrev_b32_e32 v9, 8, v13
	v_cmp_ne_u32_e64 s3, 0, v5
	s_delay_alu instid0(VALU_DEP_1) | instskip(NEXT) | instid1(VALU_DEP_1)
	v_cndmask_b32_e64 v5, 0, 1, s3
	v_and_or_b32 v5, 0xffe, v9, v5
	v_bfe_u32 v9, v13, 20, 11
	s_delay_alu instid0(VALU_DEP_2) | instskip(NEXT) | instid1(VALU_DEP_2)
	v_or_b32_e32 v29, 0x1000, v5
	v_sub_nc_u32_e32 v12, 0x3f1, v9
	v_add_nc_u32_e32 v9, 0xfffffc10, v9
	s_delay_alu instid0(VALU_DEP_2) | instskip(NEXT) | instid1(VALU_DEP_1)
	v_med3_i32 v12, v12, 0, 13
	v_lshrrev_b32_e32 v37, v12, v29
	s_delay_alu instid0(VALU_DEP_1) | instskip(NEXT) | instid1(VALU_DEP_1)
	v_lshlrev_b32_e32 v12, v12, v37
	v_cmp_ne_u32_e64 s3, v12, v29
	v_lshl_or_b32 v29, v9, 12, v5
	s_delay_alu instid0(VALU_DEP_2) | instskip(SKIP_1) | instid1(VALU_DEP_2)
	v_cndmask_b32_e64 v12, 0, 1, s3
	v_cmp_gt_i32_e64 s3, 1, v9
	v_or_b32_e32 v12, v37, v12
	s_delay_alu instid0(VALU_DEP_1) | instskip(NEXT) | instid1(VALU_DEP_1)
	v_cndmask_b32_e64 v12, v29, v12, s3
	v_and_b32_e32 v29, 7, v12
	v_lshrrev_b32_e32 v12, 2, v12
	s_delay_alu instid0(VALU_DEP_2) | instskip(SKIP_4) | instid1(VALU_DEP_4)
	v_cmp_lt_i32_e64 s3, 5, v29
	v_cmp_eq_u32_e64 s4, 3, v29
	v_cndmask_b32_e64 v29, 0, 1, s0
	v_cmp_ne_u32_e64 s0, 0, v5
	v_add_nc_u32_e32 v5, 0xfffffc10, v26
	s_or_b32 s3, s4, s3
	s_delay_alu instid0(VALU_DEP_3) | instskip(SKIP_1) | instid1(VALU_DEP_3)
	v_or_b32_e32 v28, v28, v29
	v_add_co_ci_u32_e64 v12, s3, 0, v12, s3
	v_lshl_or_b32 v26, v5, 12, v18
	v_cmp_gt_i32_e64 s5, 1, v5
	v_cmp_gt_i32_e64 s3, 31, v9
	v_cmp_ne_u32_e64 s4, 0, v18
	s_delay_alu instid0(VALU_DEP_3) | instskip(SKIP_1) | instid1(VALU_DEP_4)
	v_cndmask_b32_e64 v26, v26, v28, s5
	v_cndmask_b32_e64 v28, 0, 1, s0
	;; [unrolled: 1-line block ×3, first 2 shown]
	v_cmp_eq_u32_e64 s0, 0x40f, v9
	v_cndmask_b32_e64 v18, 0, 1, s4
	s_delay_alu instid0(VALU_DEP_4) | instskip(NEXT) | instid1(VALU_DEP_2)
	v_lshl_or_b32 v28, v28, 9, 0x7c00
	v_lshl_or_b32 v18, v18, 9, 0x7c00
	s_delay_alu instid0(VALU_DEP_2) | instskip(SKIP_2) | instid1(VALU_DEP_2)
	v_cndmask_b32_e64 v9, v12, v28, s0
	v_lshrrev_b32_e32 v12, 16, v13
	v_and_b32_e32 v13, 7, v26
	v_and_or_b32 v9, 0x8000, v12, v9
	s_delay_alu instid0(VALU_DEP_2) | instskip(SKIP_2) | instid1(VALU_DEP_4)
	v_cmp_lt_i32_e64 s0, 5, v13
	v_cmp_eq_u32_e64 s3, 3, v13
	v_lshrrev_b32_e32 v13, 2, v26
	v_and_b32_e32 v9, 0xffff, v9
	s_delay_alu instid0(VALU_DEP_3)
	s_or_b32 s0, s3, s0
	s_delay_alu instid0(VALU_DEP_2) | instid1(SALU_CYCLE_1)
	v_add_co_ci_u32_e64 v13, s0, 0, v13, s0
	v_cmp_gt_i32_e64 s0, 31, v5
	s_delay_alu instid0(VALU_DEP_1) | instskip(SKIP_1) | instid1(VALU_DEP_1)
	v_cndmask_b32_e64 v13, 0x7c00, v13, s0
	v_cmp_eq_u32_e64 s0, 0x40f, v5
	v_cndmask_b32_e64 v5, v13, v18, s0
	v_lshrrev_b32_e32 v13, 16, v19
	v_cvt_f64_f32_e32 v[18:19], v3
	v_add_co_u32 v12, s0, v32, s13
	s_delay_alu instid0(VALU_DEP_3) | instskip(SKIP_1) | instid1(VALU_DEP_2)
	v_and_or_b32 v5, 0x8000, v13, v5
	v_add_co_ci_u32_e64 v13, s0, s12, v33, s0
	v_lshl_or_b32 v5, v5, 16, v9
	global_store_b32 v[32:33], v5, off
	v_mul_f64 v[18:19], v[18:19], s[10:11]
	s_delay_alu instid0(VALU_DEP_1) | instskip(SKIP_1) | instid1(VALU_DEP_2)
	v_and_or_b32 v3, 0x1ff, v19, v18
	v_lshrrev_b32_e32 v5, 8, v19
	v_cmp_ne_u32_e64 s0, 0, v3
	s_delay_alu instid0(VALU_DEP_1) | instskip(NEXT) | instid1(VALU_DEP_1)
	v_cndmask_b32_e64 v3, 0, 1, s0
	v_and_or_b32 v3, 0xffe, v5, v3
	v_bfe_u32 v5, v19, 20, 11
	s_delay_alu instid0(VALU_DEP_2) | instskip(NEXT) | instid1(VALU_DEP_2)
	v_or_b32_e32 v18, 0x1000, v3
	v_sub_nc_u32_e32 v9, 0x3f1, v5
	v_add_nc_u32_e32 v5, 0xfffffc10, v5
	v_cmp_ne_u32_e64 s3, 0, v3
	s_delay_alu instid0(VALU_DEP_3) | instskip(NEXT) | instid1(VALU_DEP_1)
	v_med3_i32 v9, v9, 0, 13
	v_lshrrev_b32_e32 v26, v9, v18
	s_delay_alu instid0(VALU_DEP_1) | instskip(NEXT) | instid1(VALU_DEP_1)
	v_lshlrev_b32_e32 v9, v9, v26
	v_cmp_ne_u32_e64 s0, v9, v18
	v_lshl_or_b32 v18, v5, 12, v3
	s_delay_alu instid0(VALU_DEP_2) | instskip(SKIP_1) | instid1(VALU_DEP_2)
	v_cndmask_b32_e64 v9, 0, 1, s0
	v_cmp_gt_i32_e64 s0, 1, v5
	v_or_b32_e32 v9, v26, v9
	v_add_nc_u32_e32 v26, 0xfffffc10, v30
	s_delay_alu instid0(VALU_DEP_2) | instskip(SKIP_1) | instid1(VALU_DEP_3)
	v_cndmask_b32_e64 v9, v18, v9, s0
	v_cndmask_b32_e64 v18, 0, 1, s2
	v_lshl_or_b32 v28, v26, 12, v27
	v_cmp_gt_i32_e64 s0, 1, v26
	s_delay_alu instid0(VALU_DEP_3) | instskip(NEXT) | instid1(VALU_DEP_1)
	v_or_b32_e32 v18, v31, v18
	v_cndmask_b32_e64 v18, v28, v18, s0
	v_and_b32_e32 v28, 7, v9
	s_delay_alu instid0(VALU_DEP_2) | instskip(NEXT) | instid1(VALU_DEP_2)
	v_and_b32_e32 v3, 7, v18
	v_cmp_lt_i32_e64 s0, 5, v28
	v_cmp_eq_u32_e64 s2, 3, v28
	s_delay_alu instid0(VALU_DEP_3) | instskip(SKIP_2) | instid1(VALU_DEP_4)
	v_cmp_lt_i32_e64 s4, 5, v3
	v_cmp_eq_u32_e64 s5, 3, v3
	v_lshrrev_b32_e32 v3, 2, v9
	s_or_b32 s0, s2, s0
	v_cndmask_b32_e64 v9, 0, 1, s3
	s_delay_alu instid0(VALU_DEP_3) | instskip(NEXT) | instid1(VALU_DEP_2)
	s_or_b32 s2, s5, s4
	v_add_co_ci_u32_e64 v3, s0, 0, v3, s0
	v_cmp_gt_i32_e64 s0, 31, v5
	s_delay_alu instid0(VALU_DEP_3) | instskip(NEXT) | instid1(VALU_DEP_2)
	v_lshl_or_b32 v9, v9, 9, 0x7c00
	v_cndmask_b32_e64 v3, 0x7c00, v3, s0
	v_cmp_eq_u32_e64 s0, 0x40f, v5
	v_lshrrev_b32_e32 v5, 16, v19
	s_delay_alu instid0(VALU_DEP_2) | instskip(SKIP_2) | instid1(VALU_DEP_3)
	v_cndmask_b32_e64 v3, v3, v9, s0
	v_lshrrev_b32_e32 v9, 2, v18
	v_cmp_ne_u32_e64 s0, 0, v27
	v_and_or_b32 v3, 0x8000, v5, v3
	s_delay_alu instid0(VALU_DEP_3) | instskip(SKIP_1) | instid1(VALU_DEP_4)
	v_add_co_ci_u32_e64 v9, s2, 0, v9, s2
	v_cmp_gt_i32_e64 s2, 31, v26
	v_cndmask_b32_e64 v18, 0, 1, s0
	v_cmp_eq_u32_e64 s0, 0x40f, v26
	v_and_b32_e32 v3, 0xffff, v3
	s_delay_alu instid0(VALU_DEP_4) | instskip(NEXT) | instid1(VALU_DEP_4)
	v_cndmask_b32_e64 v9, 0x7c00, v9, s2
	v_lshl_or_b32 v18, v18, 9, 0x7c00
	s_delay_alu instid0(VALU_DEP_1) | instskip(SKIP_2) | instid1(VALU_DEP_1)
	v_cndmask_b32_e64 v9, v9, v18, s0
	v_lshrrev_b32_e32 v18, 16, v21
	v_add_co_u32 v28, s0, v12, s13
	v_add_co_ci_u32_e64 v29, s0, s12, v13, s0
	s_delay_alu instid0(VALU_DEP_3) | instskip(NEXT) | instid1(VALU_DEP_1)
	v_and_or_b32 v5, 0x8000, v18, v9
	v_lshl_or_b32 v3, v5, 16, v3
	global_store_b32 v[12:13], v3, off
	v_cvt_f32_f16_e32 v3, v34
	s_delay_alu instid0(VALU_DEP_1) | instskip(NEXT) | instid1(VALU_DEP_1)
	v_cvt_f64_f32_e32 v[12:13], v3
	v_mul_f64 v[30:31], v[12:13], s[10:11]
	s_clause 0x1
	scratch_load_b32 v12, off, off offset:56
	scratch_load_b32 v13, off, off offset:48
	v_and_or_b32 v3, 0x1ff, v31, v30
	v_lshrrev_b32_e32 v5, 8, v31
	v_bfe_u32 v34, v31, 20, 11
	s_delay_alu instid0(VALU_DEP_3) | instskip(NEXT) | instid1(VALU_DEP_1)
	v_cmp_ne_u32_e64 s0, 0, v3
	v_cndmask_b32_e64 v3, 0, 1, s0
	s_delay_alu instid0(VALU_DEP_1) | instskip(NEXT) | instid1(VALU_DEP_4)
	v_and_or_b32 v30, 0xffe, v5, v3
	v_sub_nc_u32_e32 v3, 0x3f1, v34
	s_delay_alu instid0(VALU_DEP_2) | instskip(NEXT) | instid1(VALU_DEP_2)
	v_or_b32_e32 v5, 0x1000, v30
	v_med3_i32 v3, v3, 0, 13
	s_delay_alu instid0(VALU_DEP_1) | instskip(NEXT) | instid1(VALU_DEP_1)
	v_lshrrev_b32_e32 v37, v3, v5
	v_lshlrev_b32_e32 v3, v3, v37
	s_delay_alu instid0(VALU_DEP_1) | instskip(SKIP_3) | instid1(VALU_DEP_1)
	v_cmp_ne_u32_e64 s4, v3, v5
	scratch_load_b32 v5, off, off offset:60 ; 4-byte Folded Reload
	v_lshrrev_b32_e32 v3, 16, v6
	s_waitcnt vmcnt(0)
	v_mul_f16_e32 v9, v5, v3
	v_mul_f16_e32 v5, v5, v6
	s_delay_alu instid0(VALU_DEP_2) | instskip(NEXT) | instid1(VALU_DEP_2)
	v_fmac_f16_e32 v9, v12, v6
	v_fma_f16 v38, v12, v3, -v5
	v_cvt_f32_f16_e32 v3, v35
	s_delay_alu instid0(VALU_DEP_1) | instskip(NEXT) | instid1(VALU_DEP_1)
	v_cvt_f64_f32_e32 v[5:6], v3
	v_mul_f64 v[18:19], v[5:6], s[10:11]
	s_delay_alu instid0(VALU_DEP_1) | instskip(SKIP_2) | instid1(VALU_DEP_3)
	v_and_or_b32 v3, 0x1ff, v19, v18
	v_lshrrev_b32_e32 v5, 8, v19
	v_bfe_u32 v21, v19, 20, 11
	v_cmp_ne_u32_e64 s0, 0, v3
	s_delay_alu instid0(VALU_DEP_1) | instskip(NEXT) | instid1(VALU_DEP_1)
	v_cndmask_b32_e64 v3, 0, 1, s0
	v_and_or_b32 v3, 0xffe, v5, v3
	s_delay_alu instid0(VALU_DEP_4) | instskip(NEXT) | instid1(VALU_DEP_2)
	v_sub_nc_u32_e32 v5, 0x3f1, v21
	v_or_b32_e32 v6, 0x1000, v3
	s_delay_alu instid0(VALU_DEP_2) | instskip(NEXT) | instid1(VALU_DEP_1)
	v_med3_i32 v5, v5, 0, 13
	v_lshrrev_b32_e32 v26, v5, v6
	s_delay_alu instid0(VALU_DEP_1) | instskip(NEXT) | instid1(VALU_DEP_1)
	v_lshlrev_b32_e32 v5, v5, v26
	v_cmp_ne_u32_e64 s2, v5, v6
	v_cvt_f32_f16_e32 v5, v36
	s_delay_alu instid0(VALU_DEP_1) | instskip(NEXT) | instid1(VALU_DEP_1)
	v_cvt_f64_f32_e32 v[5:6], v5
	v_mul_f64 v[5:6], v[5:6], s[10:11]
	s_delay_alu instid0(VALU_DEP_1) | instskip(SKIP_2) | instid1(VALU_DEP_3)
	v_and_or_b32 v5, 0x1ff, v6, v5
	v_lshrrev_b32_e32 v12, 8, v6
	v_bfe_u32 v27, v6, 20, 11
	v_cmp_ne_u32_e64 s0, 0, v5
	s_delay_alu instid0(VALU_DEP_1) | instskip(NEXT) | instid1(VALU_DEP_1)
	v_cndmask_b32_e64 v5, 0, 1, s0
	v_and_or_b32 v18, 0xffe, v12, v5
	s_delay_alu instid0(VALU_DEP_4) | instskip(NEXT) | instid1(VALU_DEP_2)
	v_sub_nc_u32_e32 v5, 0x3f1, v27
	v_or_b32_e32 v12, 0x1000, v18
	s_delay_alu instid0(VALU_DEP_2) | instskip(NEXT) | instid1(VALU_DEP_1)
	v_med3_i32 v5, v5, 0, 13
	v_lshrrev_b32_e32 v35, v5, v12
	s_delay_alu instid0(VALU_DEP_1) | instskip(NEXT) | instid1(VALU_DEP_1)
	v_lshlrev_b32_e32 v5, v5, v35
	v_cmp_ne_u32_e64 s3, v5, v12
	scratch_load_b32 v12, off, off offset:52 ; 4-byte Folded Reload
	v_lshrrev_b32_e32 v5, 16, v17
	s_waitcnt vmcnt(0)
	s_delay_alu instid0(VALU_DEP_1) | instskip(SKIP_1) | instid1(VALU_DEP_2)
	v_mul_f16_e32 v36, v12, v5
	v_mul_f16_e32 v12, v12, v17
	v_fmac_f16_e32 v36, v13, v17
	s_delay_alu instid0(VALU_DEP_2) | instskip(SKIP_1) | instid1(VALU_DEP_1)
	v_fma_f16 v17, v13, v5, -v12
	v_cvt_f32_f16_e32 v5, v9
	v_cvt_f64_f32_e32 v[12:13], v5
	s_delay_alu instid0(VALU_DEP_1) | instskip(NEXT) | instid1(VALU_DEP_1)
	v_mul_f64 v[12:13], v[12:13], s[10:11]
	v_and_or_b32 v5, 0x1ff, v13, v12
	v_lshrrev_b32_e32 v9, 8, v13
	s_delay_alu instid0(VALU_DEP_2) | instskip(NEXT) | instid1(VALU_DEP_1)
	v_cmp_ne_u32_e64 s0, 0, v5
	v_cndmask_b32_e64 v5, 0, 1, s0
	s_delay_alu instid0(VALU_DEP_1) | instskip(SKIP_1) | instid1(VALU_DEP_2)
	v_and_or_b32 v5, 0xffe, v9, v5
	v_bfe_u32 v9, v13, 20, 11
	v_or_b32_e32 v33, 0x1000, v5
	s_delay_alu instid0(VALU_DEP_2) | instskip(SKIP_1) | instid1(VALU_DEP_2)
	v_sub_nc_u32_e32 v12, 0x3f1, v9
	v_add_nc_u32_e32 v9, 0xfffffc10, v9
	v_med3_i32 v32, v12, 0, 13
	s_delay_alu instid0(VALU_DEP_1) | instskip(NEXT) | instid1(VALU_DEP_1)
	v_lshrrev_b32_e32 v12, v32, v33
	v_lshlrev_b32_e32 v32, v32, v12
	s_delay_alu instid0(VALU_DEP_1) | instskip(SKIP_1) | instid1(VALU_DEP_1)
	v_cmp_ne_u32_e64 s0, v32, v33
	v_cvt_f64_f32_e32 v[32:33], v7
	v_mul_f64 v[32:33], v[32:33], s[10:11]
	s_delay_alu instid0(VALU_DEP_1) | instskip(SKIP_1) | instid1(VALU_DEP_2)
	v_and_or_b32 v7, 0x1ff, v33, v32
	v_lshrrev_b32_e32 v23, 8, v33
	v_cmp_ne_u32_e64 s5, 0, v7
	s_delay_alu instid0(VALU_DEP_1) | instskip(NEXT) | instid1(VALU_DEP_1)
	v_cndmask_b32_e64 v7, 0, 1, s5
	v_and_or_b32 v7, 0xffe, v23, v7
	v_bfe_u32 v23, v33, 20, 11
	s_delay_alu instid0(VALU_DEP_2) | instskip(NEXT) | instid1(VALU_DEP_2)
	v_or_b32_e32 v39, 0x1000, v7
	v_sub_nc_u32_e32 v32, 0x3f1, v23
	v_add_nc_u32_e32 v23, 0xfffffc10, v23
	s_delay_alu instid0(VALU_DEP_2) | instskip(NEXT) | instid1(VALU_DEP_1)
	v_med3_i32 v32, v32, 0, 13
	v_lshrrev_b32_e32 v40, v32, v39
	s_delay_alu instid0(VALU_DEP_1) | instskip(NEXT) | instid1(VALU_DEP_1)
	v_lshlrev_b32_e32 v32, v32, v40
	v_cmp_ne_u32_e64 s5, v32, v39
	v_lshl_or_b32 v39, v23, 12, v7
	s_delay_alu instid0(VALU_DEP_2) | instskip(SKIP_1) | instid1(VALU_DEP_2)
	v_cndmask_b32_e64 v32, 0, 1, s5
	v_cmp_gt_i32_e64 s5, 1, v23
	v_or_b32_e32 v32, v40, v32
	s_delay_alu instid0(VALU_DEP_1) | instskip(NEXT) | instid1(VALU_DEP_1)
	v_cndmask_b32_e64 v32, v39, v32, s5
	v_and_b32_e32 v39, 7, v32
	s_delay_alu instid0(VALU_DEP_1) | instskip(SKIP_4) | instid1(VALU_DEP_4)
	v_cmp_lt_i32_e64 s5, 5, v39
	v_cmp_eq_u32_e64 s6, 3, v39
	v_cndmask_b32_e64 v39, 0, 1, vcc_lo
	v_cmp_ne_u32_e32 vcc_lo, 0, v7
	v_add_nc_u32_e32 v7, 0xfffffc10, v20
	s_or_b32 s5, s6, s5
	s_delay_alu instid0(VALU_DEP_3) | instskip(SKIP_1) | instid1(VALU_DEP_3)
	v_or_b32_e32 v22, v22, v39
	v_cmp_ne_u32_e64 s6, 0, v1
	v_lshl_or_b32 v20, v7, 12, v1
	v_cmp_gt_i32_e64 s7, 1, v7
	v_lshrrev_b32_e32 v1, 16, v33
	s_delay_alu instid0(VALU_DEP_2) | instskip(SKIP_3) | instid1(VALU_DEP_3)
	v_cndmask_b32_e64 v20, v20, v22, s7
	v_lshrrev_b32_e32 v22, 2, v32
	v_cndmask_b32_e64 v32, 0, 1, vcc_lo
	v_cmp_eq_u32_e32 vcc_lo, 0x40f, v23
	v_add_co_ci_u32_e64 v22, s5, 0, v22, s5
	v_cmp_gt_i32_e64 s5, 31, v23
	s_delay_alu instid0(VALU_DEP_4) | instskip(SKIP_2) | instid1(VALU_DEP_4)
	v_lshl_or_b32 v32, v32, 9, 0x7c00
	v_and_b32_e32 v23, 7, v20
	v_lshrrev_b32_e32 v20, 2, v20
	v_cndmask_b32_e64 v22, 0x7c00, v22, s5
	s_delay_alu instid0(VALU_DEP_3) | instskip(NEXT) | instid1(VALU_DEP_2)
	v_cmp_eq_u32_e64 s5, 3, v23
	v_cndmask_b32_e32 v22, v22, v32, vcc_lo
	v_cmp_lt_i32_e32 vcc_lo, 5, v23
	v_cndmask_b32_e64 v23, 0, 1, s6
	s_delay_alu instid0(VALU_DEP_3) | instskip(SKIP_1) | instid1(VALU_DEP_2)
	v_and_or_b32 v1, 0x8000, v1, v22
	s_or_b32 vcc_lo, s5, vcc_lo
	v_lshl_or_b32 v23, v23, 9, 0x7c00
	v_add_co_ci_u32_e32 v20, vcc_lo, 0, v20, vcc_lo
	v_cmp_gt_i32_e32 vcc_lo, 31, v7
	v_and_b32_e32 v1, 0xffff, v1
	s_delay_alu instid0(VALU_DEP_3) | instskip(SKIP_1) | instid1(VALU_DEP_2)
	v_cndmask_b32_e32 v20, 0x7c00, v20, vcc_lo
	v_cmp_eq_u32_e32 vcc_lo, 0x40f, v7
	v_dual_cndmask_b32 v7, v20, v23 :: v_dual_add_nc_u32 v20, 0xfffffc10, v24
	scratch_load_b32 v24, off, off offset:44 ; 4-byte Folded Reload
	v_and_or_b32 v7, 0x8000, v14, v7
	v_cndmask_b32_e64 v14, 0, 1, s1
	v_lshl_or_b32 v22, v20, 12, v15
	v_cmp_gt_i32_e32 vcc_lo, 1, v20
	s_delay_alu instid0(VALU_DEP_4) | instskip(NEXT) | instid1(VALU_DEP_4)
	v_lshl_or_b32 v1, v7, 16, v1
	v_or_b32_e32 v14, v25, v14
	scratch_load_b32 v25, off, off offset:40 ; 4-byte Folded Reload
	global_store_b32 v[28:29], v1, off
	v_cndmask_b32_e32 v14, v22, v14, vcc_lo
	s_delay_alu instid0(VALU_DEP_1) | instskip(SKIP_1) | instid1(VALU_DEP_2)
	v_and_b32_e32 v7, 7, v14
	v_lshrrev_b32_e32 v14, 2, v14
	v_cmp_lt_i32_e32 vcc_lo, 5, v7
	v_cmp_eq_u32_e64 s1, 3, v7
	v_cndmask_b32_e64 v7, 0, 1, s4
	v_cmp_ne_u32_e64 s4, 0, v15
	v_add_nc_u32_e32 v15, 0xfffffc10, v34
	s_delay_alu instid0(VALU_DEP_4) | instskip(NEXT) | instid1(VALU_DEP_3)
	s_or_b32 vcc_lo, s1, vcc_lo
	v_or_b32_e32 v7, v37, v7
	v_add_co_ci_u32_e32 v14, vcc_lo, 0, v14, vcc_lo
	s_delay_alu instid0(VALU_DEP_3) | instskip(SKIP_2) | instid1(VALU_DEP_2)
	v_lshl_or_b32 v22, v15, 12, v30
	v_cmp_gt_i32_e64 s5, 1, v15
	v_cmp_gt_i32_e32 vcc_lo, 31, v20
	v_cndmask_b32_e64 v7, v22, v7, s5
	v_cndmask_b32_e64 v22, 0, 1, s4
	v_cndmask_b32_e32 v14, 0x7c00, v14, vcc_lo
	v_cmp_eq_u32_e32 vcc_lo, 0x40f, v20
	v_cmp_ne_u32_e64 s4, 0, v30
	v_and_b32_e32 v20, 7, v7
	v_lshl_or_b32 v22, v22, 9, 0x7c00
	v_lshrrev_b32_e32 v7, 2, v7
	s_delay_alu instid0(VALU_DEP_3) | instskip(NEXT) | instid1(VALU_DEP_3)
	v_cmp_eq_u32_e64 s1, 3, v20
	v_cndmask_b32_e32 v14, v14, v22, vcc_lo
	v_cmp_lt_i32_e32 vcc_lo, 5, v20
	v_cndmask_b32_e64 v20, 0, 1, s4
	s_delay_alu instid0(VALU_DEP_3) | instskip(SKIP_1) | instid1(VALU_DEP_2)
	v_and_or_b32 v14, 0x8000, v16, v14
	s_or_b32 vcc_lo, s1, vcc_lo
	v_lshl_or_b32 v20, v20, 9, 0x7c00
	v_add_co_ci_u32_e32 v7, vcc_lo, 0, v7, vcc_lo
	v_cmp_gt_i32_e32 vcc_lo, 31, v15
	s_delay_alu instid0(VALU_DEP_2) | instskip(SKIP_2) | instid1(VALU_DEP_3)
	v_cndmask_b32_e32 v7, 0x7c00, v7, vcc_lo
	v_cmp_eq_u32_e32 vcc_lo, 0x40f, v15
	v_lshrrev_b32_e32 v15, 16, v31
	v_cndmask_b32_e32 v7, v7, v20, vcc_lo
	s_delay_alu instid0(VALU_DEP_1)
	v_and_or_b32 v1, 0x8000, v15, v7
	v_and_b32_e32 v7, 0xffff, v14
	v_mad_u64_u32 v[14:15], null, 0xffffc928, s8, v[28:29]
	scratch_load_b32 v29, off, off offset:12 ; 4-byte Folded Reload
	v_lshl_or_b32 v1, v1, 16, v7
	v_add_nc_u32_e32 v15, s9, v15
	global_store_b32 v[14:15], v1, off
	v_cvt_f32_f16_e32 v1, v38
	v_add_co_u32 v14, vcc_lo, v14, s13
	v_add_co_ci_u32_e32 v15, vcc_lo, s12, v15, vcc_lo
	s_delay_alu instid0(VALU_DEP_3) | instskip(NEXT) | instid1(VALU_DEP_1)
	v_cvt_f64_f32_e32 v[22:23], v1
	v_mul_f64 v[22:23], v[22:23], s[10:11]
	s_delay_alu instid0(VALU_DEP_1) | instskip(SKIP_3) | instid1(VALU_DEP_4)
	v_and_or_b32 v1, 0x1ff, v23, v22
	v_lshrrev_b32_e32 v7, 8, v23
	v_bfe_u32 v16, v23, 20, 11
	v_lshrrev_b32_e32 v23, 16, v23
	v_cmp_ne_u32_e32 vcc_lo, 0, v1
	v_cndmask_b32_e64 v1, 0, 1, vcc_lo
	s_delay_alu instid0(VALU_DEP_1) | instskip(SKIP_1) | instid1(VALU_DEP_2)
	v_and_or_b32 v1, 0xffe, v7, v1
	v_sub_nc_u32_e32 v7, 0x3f1, v16
	v_or_b32_e32 v20, 0x1000, v1
	s_delay_alu instid0(VALU_DEP_2) | instskip(NEXT) | instid1(VALU_DEP_1)
	v_med3_i32 v7, v7, 0, 13
	v_lshrrev_b32_e32 v22, v7, v20
	s_delay_alu instid0(VALU_DEP_1) | instskip(NEXT) | instid1(VALU_DEP_1)
	v_lshlrev_b32_e32 v7, v7, v22
	v_cmp_ne_u32_e32 vcc_lo, v7, v20
	v_lshrrev_b32_e32 v7, 16, v4
	s_waitcnt vmcnt(2)
	s_delay_alu instid0(VALU_DEP_1) | instskip(SKIP_2) | instid1(VALU_DEP_2)
	v_mul_f16_e32 v20, v24, v7
	v_mul_f16_e32 v24, v24, v4
	s_waitcnt vmcnt(1)
	v_fmac_f16_e32 v20, v25, v4
	v_cvt_f32_f16_e32 v4, v36
	s_delay_alu instid0(VALU_DEP_3) | instskip(NEXT) | instid1(VALU_DEP_2)
	v_fma_f16 v28, v25, v7, -v24
	v_cvt_f64_f32_e32 v[24:25], v4
	s_delay_alu instid0(VALU_DEP_1) | instskip(NEXT) | instid1(VALU_DEP_1)
	v_mul_f64 v[24:25], v[24:25], s[10:11]
	v_and_or_b32 v4, 0x1ff, v25, v24
	v_lshrrev_b32_e32 v7, 8, v25
	s_delay_alu instid0(VALU_DEP_2) | instskip(NEXT) | instid1(VALU_DEP_1)
	v_cmp_ne_u32_e64 s1, 0, v4
	v_cndmask_b32_e64 v4, 0, 1, s1
	s_delay_alu instid0(VALU_DEP_1) | instskip(SKIP_2) | instid1(VALU_DEP_2)
	v_and_or_b32 v24, 0xffe, v7, v4
	v_cndmask_b32_e64 v4, 0, 1, s2
	v_add_nc_u32_e32 v7, 0xfffffc10, v21
	v_or_b32_e32 v4, v26, v4
	s_delay_alu instid0(VALU_DEP_2) | instskip(SKIP_2) | instid1(VALU_DEP_2)
	v_lshl_or_b32 v21, v7, 12, v3
	v_cmp_gt_i32_e64 s1, 1, v7
	v_add_nc_u32_e32 v26, 0xfffffc10, v27
	v_cndmask_b32_e64 v4, v21, v4, s1
	v_cndmask_b32_e64 v21, 0, 1, s3
	s_delay_alu instid0(VALU_DEP_3) | instskip(SKIP_2) | instid1(VALU_DEP_4)
	v_lshl_or_b32 v27, v26, 12, v18
	v_cmp_gt_i32_e64 s1, 1, v26
	v_cmp_ne_u32_e64 s3, 0, v3
	v_or_b32_e32 v21, v35, v21
	s_delay_alu instid0(VALU_DEP_1) | instskip(SKIP_1) | instid1(VALU_DEP_2)
	v_cndmask_b32_e64 v21, v27, v21, s1
	v_and_b32_e32 v27, 7, v4
	v_and_b32_e32 v3, 7, v21
	s_delay_alu instid0(VALU_DEP_2) | instskip(SKIP_2) | instid1(VALU_DEP_4)
	v_cmp_lt_i32_e64 s1, 5, v27
	v_cmp_eq_u32_e64 s2, 3, v27
	v_lshrrev_b32_e32 v27, 16, v19
	v_cmp_lt_i32_e64 s4, 5, v3
	v_cmp_eq_u32_e64 s5, 3, v3
	v_lshrrev_b32_e32 v3, 2, v4
	s_or_b32 s1, s2, s1
	v_cndmask_b32_e64 v4, 0, 1, s3
	s_delay_alu instid0(VALU_DEP_3) | instskip(NEXT) | instid1(VALU_DEP_2)
	s_or_b32 s2, s5, s4
	v_add_co_ci_u32_e64 v3, s1, 0, v3, s1
	v_cmp_gt_i32_e64 s1, 31, v7
	s_delay_alu instid0(VALU_DEP_3) | instskip(NEXT) | instid1(VALU_DEP_2)
	v_lshl_or_b32 v4, v4, 9, 0x7c00
	v_cndmask_b32_e64 v3, 0x7c00, v3, s1
	v_cmp_eq_u32_e64 s1, 0x40f, v7
	s_delay_alu instid0(VALU_DEP_1)
	v_cndmask_b32_e64 v7, v3, v4, s1
	v_lshrrev_b32_e32 v3, 2, v21
	v_cmp_ne_u32_e64 s1, 0, v18
	v_cvt_f32_f16_e32 v18, v20
	v_bfe_u32 v21, v25, 20, 11
	v_lshrrev_b32_e32 v25, 16, v25
	v_add_co_ci_u32_e64 v3, s2, 0, v3, s2
	v_cmp_gt_i32_e64 s2, 31, v26
	v_cndmask_b32_e64 v4, 0, 1, s1
	v_cmp_eq_u32_e64 s1, 0x40f, v26
	s_delay_alu instid0(VALU_DEP_3) | instskip(NEXT) | instid1(VALU_DEP_3)
	v_cndmask_b32_e64 v3, 0x7c00, v3, s2
	v_lshl_or_b32 v4, v4, 9, 0x7c00
	s_delay_alu instid0(VALU_DEP_1) | instskip(SKIP_1) | instid1(VALU_DEP_1)
	v_cndmask_b32_e64 v20, v3, v4, s1
	v_cvt_f64_f32_e32 v[3:4], v18
	v_mul_f64 v[18:19], v[3:4], s[10:11]
	v_lshrrev_b32_e32 v3, 16, v6
	v_sub_nc_u32_e32 v6, 0x3f1, v21
	v_and_or_b32 v4, 0x8000, v27, v7
	v_or_b32_e32 v7, 0x1000, v24
	scratch_load_b32 v27, off, off offset:32 ; 4-byte Folded Reload
	v_and_or_b32 v3, 0x8000, v3, v20
	v_med3_i32 v6, v6, 0, 13
	v_and_b32_e32 v4, 0xffff, v4
	v_add_nc_u32_e32 v21, 0xfffffc10, v21
	s_delay_alu instid0(VALU_DEP_3) | instskip(NEXT) | instid1(VALU_DEP_3)
	v_lshrrev_b32_e32 v20, v6, v7
	v_lshl_or_b32 v3, v3, 16, v4
	s_delay_alu instid0(VALU_DEP_2)
	v_lshlrev_b32_e32 v4, v6, v20
	global_store_b32 v[14:15], v3, off
	v_add_co_u32 v3, s2, v14, s13
	v_lshrrev_b32_e32 v6, 16, v11
	v_cmp_ne_u32_e64 s1, v4, v7
	v_add_co_ci_u32_e64 v4, s2, s12, v15, s2
	scratch_load_b32 v15, off, off offset:36 ; 4-byte Folded Reload
	v_and_or_b32 v7, 0x1ff, v19, v18
	v_bfe_u32 v18, v19, 20, 11
	s_delay_alu instid0(VALU_DEP_2) | instskip(NEXT) | instid1(VALU_DEP_1)
	v_cmp_ne_u32_e64 s2, 0, v7
	v_cndmask_b32_e64 v7, 0, 1, s2
	s_waitcnt vmcnt(0)
	v_mul_f16_e32 v14, v15, v6
	v_mul_f16_e32 v15, v15, v11
	s_delay_alu instid0(VALU_DEP_2) | instskip(SKIP_1) | instid1(VALU_DEP_3)
	v_fmac_f16_e32 v14, v27, v11
	v_lshrrev_b32_e32 v11, 8, v19
	v_fma_f16 v15, v27, v6, -v15
	s_delay_alu instid0(VALU_DEP_3) | instskip(NEXT) | instid1(VALU_DEP_3)
	v_cvt_f32_f16_e32 v14, v14
	v_and_or_b32 v26, 0xffe, v11, v7
	v_sub_nc_u32_e32 v7, 0x3f1, v18
	v_cvt_f32_f16_e32 v11, v17
	v_add_nc_u32_e32 v18, 0xfffffc10, v18
	s_delay_alu instid0(VALU_DEP_3) | instskip(SKIP_1) | instid1(VALU_DEP_1)
	v_med3_i32 v6, v7, 0, 13
	v_or_b32_e32 v7, 0x1000, v26
	v_lshrrev_b32_e32 v27, v6, v7
	s_delay_alu instid0(VALU_DEP_1) | instskip(NEXT) | instid1(VALU_DEP_1)
	v_lshlrev_b32_e32 v6, v6, v27
	v_cmp_ne_u32_e64 s2, v6, v7
	v_cvt_f64_f32_e32 v[6:7], v11
	s_delay_alu instid0(VALU_DEP_1) | instskip(NEXT) | instid1(VALU_DEP_1)
	v_mul_f64 v[6:7], v[6:7], s[10:11]
	v_and_or_b32 v6, 0x1ff, v7, v6
	v_lshrrev_b32_e32 v11, 8, v7
	s_delay_alu instid0(VALU_DEP_2) | instskip(NEXT) | instid1(VALU_DEP_1)
	v_cmp_ne_u32_e64 s3, 0, v6
	v_cndmask_b32_e64 v6, 0, 1, s3
	s_delay_alu instid0(VALU_DEP_1) | instskip(SKIP_3) | instid1(VALU_DEP_3)
	v_and_or_b32 v17, 0xffe, v11, v6
	v_cndmask_b32_e64 v6, 0, 1, s0
	v_lshl_or_b32 v11, v9, 12, v5
	v_cmp_gt_i32_e64 s0, 1, v9
	v_or_b32_e32 v6, v12, v6
	s_delay_alu instid0(VALU_DEP_1) | instskip(SKIP_1) | instid1(VALU_DEP_1)
	v_cndmask_b32_e64 v6, v11, v6, s0
	v_cvt_f32_f16_e32 v11, v28
	v_cvt_f64_f32_e32 v[11:12], v11
	s_delay_alu instid0(VALU_DEP_1) | instskip(NEXT) | instid1(VALU_DEP_1)
	v_mul_f64 v[11:12], v[11:12], s[10:11]
	v_and_or_b32 v11, 0x1ff, v12, v11
	v_lshrrev_b32_e32 v28, 8, v12
	s_delay_alu instid0(VALU_DEP_2) | instskip(NEXT) | instid1(VALU_DEP_1)
	v_cmp_ne_u32_e64 s0, 0, v11
	v_cndmask_b32_e64 v11, 0, 1, s0
	s_delay_alu instid0(VALU_DEP_1) | instskip(SKIP_2) | instid1(VALU_DEP_2)
	v_and_or_b32 v11, 0xffe, v28, v11
	v_and_b32_e32 v28, 7, v6
	v_lshrrev_b32_e32 v6, 2, v6
	v_cmp_lt_i32_e64 s0, 5, v28
	v_cmp_eq_u32_e64 s3, 3, v28
	v_cndmask_b32_e64 v28, 0, 1, vcc_lo
	v_cmp_ne_u32_e32 vcc_lo, 0, v5
	v_add_nc_u32_e32 v5, 0xfffffc10, v16
	s_delay_alu instid0(VALU_DEP_4) | instskip(NEXT) | instid1(VALU_DEP_3)
	s_or_b32 s0, s3, s0
	v_or_b32_e32 v22, v22, v28
	v_add_co_ci_u32_e64 v6, s0, 0, v6, s0
	s_delay_alu instid0(VALU_DEP_3) | instskip(SKIP_2) | instid1(VALU_DEP_2)
	v_lshl_or_b32 v16, v5, 12, v1
	v_cmp_gt_i32_e64 s4, 1, v5
	v_cmp_gt_i32_e64 s0, 31, v9
	v_cndmask_b32_e64 v16, v16, v22, s4
	v_cndmask_b32_e64 v22, 0, 1, vcc_lo
	s_delay_alu instid0(VALU_DEP_3)
	v_cndmask_b32_e64 v6, 0x7c00, v6, s0
	v_cmp_eq_u32_e32 vcc_lo, 0x40f, v9
	v_lshrrev_b32_e32 v9, 16, v13
	v_and_b32_e32 v13, 7, v16
	v_lshl_or_b32 v22, v22, 9, 0x7c00
	v_lshrrev_b32_e32 v16, 2, v16
	s_delay_alu instid0(VALU_DEP_3) | instskip(NEXT) | instid1(VALU_DEP_3)
	v_cmp_eq_u32_e64 s0, 3, v13
	v_cndmask_b32_e32 v6, v6, v22, vcc_lo
	v_cmp_lt_i32_e32 vcc_lo, 5, v13
	v_bfe_u32 v13, v7, 20, 11
	v_or_b32_e32 v22, 0x1000, v17
	v_lshrrev_b32_e32 v7, 16, v7
	v_and_or_b32 v9, 0x8000, v9, v6
	s_or_b32 vcc_lo, s0, vcc_lo
	v_sub_nc_u32_e32 v6, 0x3f1, v13
	v_add_co_ci_u32_e32 v16, vcc_lo, 0, v16, vcc_lo
	v_cmp_ne_u32_e32 vcc_lo, 0, v1
	v_and_b32_e32 v9, 0xffff, v9
	s_delay_alu instid0(VALU_DEP_4) | instskip(SKIP_2) | instid1(VALU_DEP_2)
	v_med3_i32 v6, v6, 0, 13
	v_cndmask_b32_e64 v1, 0, 1, vcc_lo
	v_cmp_gt_i32_e32 vcc_lo, 31, v5
	v_lshl_or_b32 v1, v1, 9, 0x7c00
	v_cndmask_b32_e32 v16, 0x7c00, v16, vcc_lo
	v_cmp_eq_u32_e32 vcc_lo, 0x40f, v5
	v_cndmask_b32_e64 v5, 0, 1, s1
	s_delay_alu instid0(VALU_DEP_3) | instskip(SKIP_1) | instid1(VALU_DEP_3)
	v_cndmask_b32_e32 v1, v16, v1, vcc_lo
	v_lshrrev_b32_e32 v16, v6, v22
	v_or_b32_e32 v20, v20, v5
	s_delay_alu instid0(VALU_DEP_3) | instskip(NEXT) | instid1(VALU_DEP_3)
	v_and_or_b32 v1, 0x8000, v23, v1
	v_lshlrev_b32_e32 v28, v6, v16
	v_cvt_f64_f32_e32 v[5:6], v14
	v_bfe_u32 v23, v12, 20, 11
	s_delay_alu instid0(VALU_DEP_4) | instskip(NEXT) | instid1(VALU_DEP_4)
	v_lshl_or_b32 v1, v1, 16, v9
	v_cmp_ne_u32_e32 vcc_lo, v28, v22
	v_add_nc_u32_e32 v22, 0xfffffc10, v13
	v_lshl_or_b32 v13, v21, 12, v24
	v_or_b32_e32 v28, 0x1000, v11
	global_store_b32 v[3:4], v1, off
	v_cndmask_b32_e64 v14, 0, 1, vcc_lo
	v_cmp_gt_i32_e32 vcc_lo, 1, v21
	s_delay_alu instid0(VALU_DEP_2) | instskip(SKIP_4) | instid1(VALU_DEP_4)
	v_or_b32_e32 v14, v16, v14
	v_lshl_or_b32 v16, v22, 12, v17
	v_cndmask_b32_e32 v13, v13, v20, vcc_lo
	v_cmp_gt_i32_e32 vcc_lo, 1, v22
	v_sub_nc_u32_e32 v20, 0x3f1, v23
	v_cndmask_b32_e32 v16, v16, v14, vcc_lo
	s_delay_alu instid0(VALU_DEP_4) | instskip(SKIP_1) | instid1(VALU_DEP_4)
	v_and_b32_e32 v14, 7, v13
	v_lshrrev_b32_e32 v13, 2, v13
	v_med3_i32 v20, v20, 0, 13
	s_delay_alu instid0(VALU_DEP_4) | instskip(NEXT) | instid1(VALU_DEP_4)
	v_and_b32_e32 v9, 7, v16
	v_cmp_lt_i32_e32 vcc_lo, 5, v14
	v_cmp_eq_u32_e64 s0, 3, v14
	v_cvt_f32_f16_e32 v14, v15
	s_delay_alu instid0(VALU_DEP_4) | instskip(SKIP_1) | instid1(VALU_DEP_4)
	v_cmp_lt_i32_e64 s1, 5, v9
	v_cmp_eq_u32_e64 s3, 3, v9
	s_or_b32 vcc_lo, s0, vcc_lo
	v_add_co_ci_u32_e32 v9, vcc_lo, 0, v13, vcc_lo
	v_cmp_ne_u32_e32 vcc_lo, 0, v24
	v_lshrrev_b32_e32 v24, v20, v28
	v_mul_f64 v[5:6], v[5:6], s[10:11]
	v_cndmask_b32_e64 v13, 0, 1, vcc_lo
	v_cmp_gt_i32_e32 vcc_lo, 31, v21
	s_delay_alu instid0(VALU_DEP_4) | instskip(NEXT) | instid1(VALU_DEP_3)
	v_lshlrev_b32_e32 v20, v20, v24
	v_lshl_or_b32 v15, v13, 9, 0x7c00
	v_cndmask_b32_e32 v9, 0x7c00, v9, vcc_lo
	v_cmp_eq_u32_e32 vcc_lo, 0x40f, v21
	v_lshl_or_b32 v21, v18, 12, v26
	v_cvt_f64_f32_e32 v[13:14], v14
	s_delay_alu instid0(VALU_DEP_4) | instskip(SKIP_3) | instid1(VALU_DEP_3)
	v_cndmask_b32_e32 v9, v9, v15, vcc_lo
	v_lshrrev_b32_e32 v15, 2, v16
	s_or_b32 vcc_lo, s3, s1
	v_cndmask_b32_e64 v16, 0, 1, s2
	v_and_or_b32 v9, 0x8000, v25, v9
	s_delay_alu instid0(VALU_DEP_3) | instskip(SKIP_1) | instid1(VALU_DEP_4)
	v_add_co_ci_u32_e32 v15, vcc_lo, 0, v15, vcc_lo
	v_cmp_ne_u32_e32 vcc_lo, 0, v17
	v_or_b32_e32 v16, v27, v16
	scratch_load_b32 v27, off, off offset:24 ; 4-byte Folded Reload
	v_and_b32_e32 v9, 0xffff, v9
	v_cndmask_b32_e64 v17, 0, 1, vcc_lo
	v_cmp_gt_i32_e32 vcc_lo, 31, v22
	s_delay_alu instid0(VALU_DEP_2)
	v_lshl_or_b32 v17, v17, 9, 0x7c00
	v_cndmask_b32_e32 v15, 0x7c00, v15, vcc_lo
	v_cmp_gt_i32_e32 vcc_lo, 1, v18
	v_and_or_b32 v1, 0x1ff, v6, v5
	v_cndmask_b32_e32 v16, v21, v16, vcc_lo
	v_cmp_eq_u32_e32 vcc_lo, 0x40f, v22
	s_delay_alu instid0(VALU_DEP_3) | instskip(NEXT) | instid1(VALU_DEP_3)
	v_cmp_ne_u32_e64 s1, 0, v1
	v_and_b32_e32 v21, 7, v16
	v_cndmask_b32_e32 v15, v15, v17, vcc_lo
	v_cmp_ne_u32_e32 vcc_lo, v20, v28
	v_add_nc_u32_e32 v20, 0xfffffc10, v23
	v_lshrrev_b32_e32 v16, 2, v16
	v_mul_f64 v[13:14], v[13:14], s[10:11]
	v_and_or_b32 v7, 0x8000, v7, v15
	v_cndmask_b32_e64 v17, 0, 1, vcc_lo
	v_lshl_or_b32 v22, v20, 12, v11
	v_cmp_gt_i32_e64 s0, 1, v20
	v_cmp_lt_i32_e32 vcc_lo, 5, v21
	v_cndmask_b32_e64 v1, 0, 1, s1
	v_or_b32_e32 v17, v24, v17
	scratch_load_b32 v24, off, off offset:28 ; 4-byte Folded Reload
	v_lshl_or_b32 v7, v7, 16, v9
	scratch_load_b32 v28, off, off offset:8 ; 4-byte Folded Reload
	v_cndmask_b32_e64 v15, v22, v17, s0
	v_lshrrev_b32_e32 v17, 16, v0
	v_cmp_eq_u32_e64 s0, 3, v21
	v_bfe_u32 v22, v6, 20, 11
	s_delay_alu instid0(VALU_DEP_4) | instskip(SKIP_1) | instid1(VALU_DEP_4)
	v_and_b32_e32 v5, 7, v15
	v_lshrrev_b32_e32 v15, 2, v15
	s_or_b32 vcc_lo, s0, vcc_lo
	s_delay_alu instid0(VALU_DEP_3)
	v_sub_nc_u32_e32 v25, 0x3f1, v22
	v_add_co_ci_u32_e32 v16, vcc_lo, 0, v16, vcc_lo
	v_cmp_lt_i32_e64 s1, 5, v5
	v_cmp_eq_u32_e64 s2, 3, v5
	v_lshrrev_b32_e32 v5, 8, v6
	v_cmp_ne_u32_e32 vcc_lo, 0, v26
	v_med3_i32 v25, v25, 0, 13
	v_add_nc_u32_e32 v22, 0xfffffc10, v22
	s_delay_alu instid0(VALU_DEP_4) | instskip(SKIP_2) | instid1(VALU_DEP_2)
	v_and_or_b32 v5, 0xffe, v5, v1
	v_cndmask_b32_e64 v1, 0, 1, vcc_lo
	v_cmp_gt_i32_e32 vcc_lo, 31, v18
	v_lshl_or_b32 v23, v1, 9, 0x7c00
	v_cndmask_b32_e32 v16, 0x7c00, v16, vcc_lo
	v_cmp_eq_u32_e32 vcc_lo, 0x40f, v18
	v_and_or_b32 v13, 0x1ff, v14, v13
	v_bfe_u32 v26, v14, 20, 11
	s_delay_alu instid0(VALU_DEP_4)
	v_cndmask_b32_e32 v18, v16, v23, vcc_lo
	s_or_b32 vcc_lo, s2, s1
	v_add_co_ci_u32_e32 v15, vcc_lo, 0, v15, vcc_lo
	v_cmp_ne_u32_e32 vcc_lo, 0, v11
	v_cndmask_b32_e64 v11, 0, 1, vcc_lo
	v_cmp_gt_i32_e32 vcc_lo, 31, v20
	s_delay_alu instid0(VALU_DEP_2) | instskip(SKIP_3) | instid1(VALU_DEP_2)
	v_lshl_or_b32 v11, v11, 9, 0x7c00
	s_waitcnt vmcnt(1)
	v_mul_f16_e32 v21, v24, v17
	v_mul_f16_e32 v24, v24, v0
	v_fmac_f16_e32 v21, v27, v0
	s_delay_alu instid0(VALU_DEP_2)
	v_fma_f16 v16, v27, v17, -v24
	v_lshrrev_b32_e32 v17, 16, v19
	v_cndmask_b32_e32 v19, 0x7c00, v15, vcc_lo
	v_cmp_ne_u32_e32 vcc_lo, 0, v13
	v_cvt_f32_f16_e32 v21, v21
	scratch_load_b32 v27, off, off offset:20 ; 4-byte Folded Reload
	v_cvt_f32_f16_e32 v15, v16
	v_cndmask_b32_e64 v13, 0, 1, vcc_lo
	v_cvt_f64_f32_e32 v[0:1], v21
	v_or_b32_e32 v21, 0x1000, v5
	s_delay_alu instid0(VALU_DEP_4) | instskip(NEXT) | instid1(VALU_DEP_2)
	v_cvt_f64_f32_e32 v[15:16], v15
	v_lshrrev_b32_e32 v23, v25, v21
	s_delay_alu instid0(VALU_DEP_1) | instskip(SKIP_2) | instid1(VALU_DEP_3)
	v_lshlrev_b32_e32 v24, v25, v23
	v_lshrrev_b32_e32 v25, 8, v14
	v_lshrrev_b32_e32 v14, 16, v14
	v_cmp_ne_u32_e32 vcc_lo, v24, v21
	s_delay_alu instid0(VALU_DEP_3) | instskip(SKIP_4) | instid1(VALU_DEP_4)
	v_and_or_b32 v13, 0xffe, v25, v13
	v_sub_nc_u32_e32 v24, 0x3f1, v26
	v_lshrrev_b32_e32 v25, 16, v12
	v_cndmask_b32_e64 v21, 0, 1, vcc_lo
	v_cmp_eq_u32_e32 vcc_lo, 0x40f, v20
	v_med3_i32 v24, v24, 0, 13
	s_delay_alu instid0(VALU_DEP_3) | instskip(SKIP_4) | instid1(VALU_DEP_4)
	v_or_b32_e32 v20, v23, v21
	v_cndmask_b32_e32 v19, v19, v11, vcc_lo
	v_lshl_or_b32 v21, v22, 12, v5
	v_cmp_gt_i32_e32 vcc_lo, 1, v22
	v_or_b32_e32 v23, 0x1000, v13
	v_and_or_b32 v9, 0x8000, v25, v19
	v_mul_f64 v[11:12], v[0:1], s[10:11]
	v_cndmask_b32_e32 v1, v21, v20, vcc_lo
	v_add_nc_u32_e32 v21, 0xfffffc10, v26
	scratch_load_b32 v26, off, off offset:16 ; 4-byte Folded Reload
	v_and_or_b32 v0, 0x8000, v17, v18
	v_lshrrev_b32_e32 v17, v24, v23
	v_and_b32_e32 v18, 7, v1
	v_lshrrev_b32_e32 v20, 16, v10
	v_add_co_u32 v3, vcc_lo, v3, s13
	s_delay_alu instid0(VALU_DEP_4) | instskip(SKIP_3) | instid1(VALU_DEP_4)
	v_lshlrev_b32_e32 v19, v24, v17
	v_add_co_ci_u32_e32 v4, vcc_lo, s12, v4, vcc_lo
	v_cmp_lt_i32_e32 vcc_lo, 5, v18
	v_cmp_eq_u32_e64 s0, 3, v18
	v_cmp_ne_u32_e64 s1, v19, v23
	v_lshrrev_b32_e32 v1, 2, v1
	v_mul_f64 v[15:16], v[15:16], s[10:11]
	v_and_b32_e32 v0, 0xffff, v0
	s_or_b32 vcc_lo, s0, vcc_lo
	v_cndmask_b32_e64 v19, 0, 1, s1
	v_add_co_ci_u32_e32 v1, vcc_lo, 0, v1, vcc_lo
	v_cmp_ne_u32_e32 vcc_lo, 0, v5
	v_lshl_or_b32 v23, v21, 12, v13
	s_delay_alu instid0(VALU_DEP_4) | instskip(SKIP_3) | instid1(VALU_DEP_2)
	v_or_b32_e32 v19, v17, v19
	v_lshl_or_b32 v24, v9, 16, v0
	v_cndmask_b32_e64 v5, 0, 1, vcc_lo
	v_cmp_gt_i32_e32 vcc_lo, 1, v21
	v_lshl_or_b32 v5, v5, 9, 0x7c00
	v_cndmask_b32_e32 v9, v23, v19, vcc_lo
	v_cmp_gt_i32_e32 vcc_lo, 31, v22
	v_and_or_b32 v11, 0x1ff, v12, v11
	s_delay_alu instid0(VALU_DEP_3)
	v_and_b32_e32 v23, 7, v9
	v_cndmask_b32_e32 v19, 0x7c00, v1, vcc_lo
	v_add_co_u32 v0, vcc_lo, v3, s13
	v_add_co_ci_u32_e32 v1, vcc_lo, s12, v4, vcc_lo
	v_cmp_eq_u32_e32 vcc_lo, 0x40f, v22
	v_cmp_ne_u32_e64 s0, 0, v11
	v_lshrrev_b32_e32 v11, 8, v12
	v_bfe_u32 v22, v12, 20, 11
	global_store_b32 v[3:4], v7, off
	global_store_b32 v[0:1], v24, off
	v_cndmask_b32_e32 v19, v19, v5, vcc_lo
	v_cmp_lt_i32_e32 vcc_lo, 5, v23
	v_cndmask_b32_e64 v5, 0, 1, s0
	v_cmp_eq_u32_e64 s0, 3, v23
	v_lshrrev_b32_e32 v23, 16, v6
	v_lshrrev_b32_e32 v6, 2, v9
	scratch_load_b32 v24, off, off          ; 4-byte Folded Reload
	v_and_or_b32 v11, 0xffe, v11, v5
	s_or_b32 vcc_lo, s0, vcc_lo
	v_sub_nc_u32_e32 v5, 0x3f1, v22
	v_add_co_ci_u32_e32 v6, vcc_lo, 0, v6, vcc_lo
	v_cmp_ne_u32_e32 vcc_lo, 0, v13
	v_or_b32_e32 v25, 0x1000, v11
	s_delay_alu instid0(VALU_DEP_4)
	v_med3_i32 v5, v5, 0, 13
	v_and_or_b32 v13, 0x1ff, v16, v15
	v_add_nc_u32_e32 v22, 0xfffffc10, v22
	v_and_or_b32 v19, 0x8000, v23, v19
	v_lshrrev_b32_e32 v12, 16, v12
	v_lshrrev_b32_e32 v15, v5, v25
	s_delay_alu instid0(VALU_DEP_3)
	v_and_b32_e32 v19, 0xffff, v19
	s_waitcnt vmcnt(2)
	v_mul_f16_e32 v18, v27, v20
	v_mul_f16_e32 v9, v27, v10
	v_lshlrev_b32_e32 v27, v5, v15
	s_waitcnt vmcnt(1)
	s_delay_alu instid0(VALU_DEP_3) | instskip(SKIP_3) | instid1(VALU_DEP_4)
	v_fmac_f16_e32 v18, v26, v10
	v_cndmask_b32_e64 v10, 0, 1, vcc_lo
	v_cmp_gt_i32_e32 vcc_lo, 31, v21
	v_fma_f16 v9, v26, v20, -v9
	v_cvt_f32_f16_e32 v17, v18
	s_delay_alu instid0(VALU_DEP_4)
	v_lshl_or_b32 v26, v10, 9, 0x7c00
	v_cndmask_b32_e32 v20, 0x7c00, v6, vcc_lo
	v_cmp_ne_u32_e32 vcc_lo, 0, v13
	v_cvt_f32_f16_e32 v9, v9
	v_cvt_f64_f32_e32 v[17:18], v17
	v_cndmask_b32_e64 v13, 0, 1, vcc_lo
	v_cmp_eq_u32_e32 vcc_lo, 0x40f, v21
	s_delay_alu instid0(VALU_DEP_4) | instskip(SKIP_3) | instid1(VALU_DEP_3)
	v_cvt_f64_f32_e32 v[9:10], v9
	v_cndmask_b32_e32 v20, v20, v26, vcc_lo
	v_cmp_ne_u32_e32 vcc_lo, v27, v25
	v_lshrrev_b32_e32 v26, 16, v2
	v_and_or_b32 v14, 0x8000, v14, v20
	v_cndmask_b32_e64 v21, 0, 1, vcc_lo
	v_cmp_gt_i32_e32 vcc_lo, 1, v22
	s_delay_alu instid0(VALU_DEP_3) | instskip(NEXT) | instid1(VALU_DEP_3)
	v_lshl_or_b32 v3, v14, 16, v19
	v_or_b32_e32 v15, v15, v21
	v_lshl_or_b32 v21, v22, 12, v11
	s_delay_alu instid0(VALU_DEP_1) | instskip(SKIP_1) | instid1(VALU_DEP_2)
	v_cndmask_b32_e32 v15, v21, v15, vcc_lo
	v_mul_f16_e32 v21, v29, v26
	v_and_b32_e32 v20, 7, v15
	s_delay_alu instid0(VALU_DEP_2) | instskip(SKIP_2) | instid1(VALU_DEP_4)
	v_fmac_f16_e32 v21, v28, v2
	v_lshrrev_b32_e32 v15, 2, v15
	v_mul_f16_e32 v2, v29, v2
	v_cmp_lt_i32_e32 vcc_lo, 5, v20
	s_delay_alu instid0(VALU_DEP_4)
	v_cvt_f32_f16_e32 v4, v21
	v_mul_f64 v[5:6], v[17:18], s[10:11]
	v_lshrrev_b32_e32 v17, 8, v16
	v_bfe_u32 v18, v16, 20, 11
	v_fma_f16 v2, v28, v26, -v2
	v_lshrrev_b32_e32 v16, 16, v16
	s_delay_alu instid0(VALU_DEP_4) | instskip(NEXT) | instid1(VALU_DEP_4)
	v_and_or_b32 v17, 0xffe, v17, v13
	v_sub_nc_u32_e32 v13, 0x3f1, v18
	v_add_nc_u32_e32 v18, 0xfffffc10, v18
	v_cvt_f32_f16_e32 v2, v2
	s_delay_alu instid0(VALU_DEP_4) | instskip(NEXT) | instid1(VALU_DEP_4)
	v_or_b32_e32 v25, 0x1000, v17
	v_med3_i32 v13, v13, 0, 13
	s_delay_alu instid0(VALU_DEP_1) | instskip(NEXT) | instid1(VALU_DEP_1)
	v_lshrrev_b32_e32 v27, v13, v25
	v_lshlrev_b32_e32 v13, v13, v27
	s_delay_alu instid0(VALU_DEP_1)
	v_cmp_ne_u32_e64 s0, v13, v25
	scratch_load_b32 v25, off, off offset:4 ; 4-byte Folded Reload
	v_cvt_f64_f32_e32 v[13:14], v4
	v_cndmask_b32_e64 v7, 0, 1, s0
	v_cmp_eq_u32_e64 s0, 3, v20
	v_lshl_or_b32 v20, v18, 12, v17
	s_delay_alu instid0(VALU_DEP_3) | instskip(SKIP_1) | instid1(VALU_DEP_4)
	v_or_b32_e32 v7, v27, v7
	v_and_or_b32 v19, 0x1ff, v6, v5
	s_or_b32 vcc_lo, s0, vcc_lo
	v_mul_f64 v[4:5], v[9:10], s[10:11]
	v_add_co_ci_u32_e32 v15, vcc_lo, 0, v15, vcc_lo
	s_delay_alu instid0(VALU_DEP_3) | instskip(SKIP_3) | instid1(VALU_DEP_4)
	v_cmp_ne_u32_e64 s1, 0, v19
	v_cmp_gt_i32_e32 vcc_lo, 1, v18
	v_lshrrev_b32_e32 v10, 8, v6
	v_bfe_u32 v19, v6, 20, 11
	v_cndmask_b32_e64 v9, 0, 1, s1
	v_cndmask_b32_e32 v7, v20, v7, vcc_lo
	v_cmp_ne_u32_e32 vcc_lo, 0, v11
	v_cmp_eq_u32_e64 s1, 0x40f, v22
	s_delay_alu instid0(VALU_DEP_4)
	v_and_or_b32 v20, 0xffe, v10, v9
	v_sub_nc_u32_e32 v9, 0x3f1, v19
	v_cndmask_b32_e64 v10, 0, 1, vcc_lo
	v_and_b32_e32 v11, 7, v7
	v_cmp_gt_i32_e32 vcc_lo, 31, v22
	v_or_b32_e32 v21, 0x1000, v20
	v_med3_i32 v9, v9, 0, 13
	v_lshrrev_b32_e32 v7, 2, v7
	v_cmp_eq_u32_e64 s0, 3, v11
	v_cndmask_b32_e32 v15, 0x7c00, v15, vcc_lo
	v_cmp_lt_i32_e32 vcc_lo, 5, v11
	v_lshl_or_b32 v10, v10, 9, 0x7c00
	v_lshrrev_b32_e32 v23, v9, v21
	s_or_b32 vcc_lo, s0, vcc_lo
	s_delay_alu instid0(VALU_DEP_2) | instskip(SKIP_1) | instid1(VALU_DEP_3)
	v_cndmask_b32_e64 v11, v15, v10, s1
	v_add_co_ci_u32_e32 v7, vcc_lo, 0, v7, vcc_lo
	v_lshlrev_b32_e32 v15, v9, v23
	v_cmp_ne_u32_e32 vcc_lo, 0, v17
	v_mul_f64 v[9:10], v[13:14], s[10:11]
	v_cndmask_b32_e64 v17, 0, 1, vcc_lo
	s_delay_alu instid0(VALU_DEP_4)
	v_cmp_ne_u32_e32 vcc_lo, v15, v21
	v_add_nc_u32_e32 v15, 0xfffffc10, v19
	v_and_or_b32 v4, 0x1ff, v5, v4
	v_and_or_b32 v19, 0x8000, v12, v11
	v_lshl_or_b32 v14, v17, 9, 0x7c00
	v_cndmask_b32_e64 v13, 0, 1, vcc_lo
	v_cmp_gt_i32_e32 vcc_lo, 31, v18
	v_lshl_or_b32 v17, v15, 12, v20
	v_cvt_f64_f32_e32 v[11:12], v2
	v_lshrrev_b32_e32 v21, 16, v8
	v_or_b32_e32 v13, v23, v13
	v_cndmask_b32_e32 v7, 0x7c00, v7, vcc_lo
	v_cmp_gt_i32_e32 vcc_lo, 1, v15
	v_bfe_u32 v2, v5, 20, 11
	v_and_b32_e32 v19, 0xffff, v19
	v_cndmask_b32_e32 v13, v17, v13, vcc_lo
	v_cmp_ne_u32_e32 vcc_lo, 0, v4
	v_lshrrev_b32_e32 v17, 8, v5
	v_cndmask_b32_e64 v4, 0, 1, vcc_lo
	v_cmp_eq_u32_e32 vcc_lo, 0x40f, v18
	s_delay_alu instid0(VALU_DEP_2) | instskip(SKIP_3) | instid1(VALU_DEP_4)
	v_and_or_b32 v4, 0xffe, v17, v4
	v_dual_cndmask_b32 v7, v7, v14 :: v_dual_and_b32 v14, 7, v13
	v_sub_nc_u32_e32 v17, 0x3f1, v2
	v_add_nc_u32_e32 v2, 0xfffffc10, v2
	v_or_b32_e32 v22, 0x1000, v4
	s_delay_alu instid0(VALU_DEP_4)
	v_and_or_b32 v16, 0x8000, v16, v7
	v_cmp_lt_i32_e32 vcc_lo, 5, v14
	v_cmp_eq_u32_e64 s0, 3, v14
	v_lshrrev_b32_e32 v7, 2, v13
	v_med3_i32 v17, v17, 0, 13
	v_and_or_b32 v9, 0x1ff, v10, v9
	v_lshl_or_b32 v16, v16, 16, v19
	s_or_b32 vcc_lo, s0, vcc_lo
	s_delay_alu instid0(VALU_DEP_3) | instskip(SKIP_2) | instid1(VALU_DEP_1)
	v_lshrrev_b32_e32 v23, v17, v22
	s_waitcnt vmcnt(0)
	v_mul_f16_e32 v18, v25, v21
	v_fmac_f16_e32 v18, v24, v8
	v_mul_f16_e32 v8, v25, v8
	s_delay_alu instid0(VALU_DEP_2) | instskip(SKIP_3) | instid1(VALU_DEP_4)
	v_cvt_f32_f16_e32 v13, v18
	v_add_co_ci_u32_e32 v18, vcc_lo, 0, v7, vcc_lo
	v_cmp_ne_u32_e32 vcc_lo, 0, v20
	v_lshlrev_b32_e32 v7, v17, v23
	v_cvt_f64_f32_e32 v[13:14], v13
	v_lshrrev_b32_e32 v20, 8, v10
	v_fma_f16 v8, v24, v21, -v8
	v_cndmask_b32_e64 v17, 0, 1, vcc_lo
	v_cmp_ne_u32_e32 vcc_lo, 0, v9
	s_delay_alu instid0(VALU_DEP_2) | instskip(SKIP_4) | instid1(VALU_DEP_4)
	v_lshl_or_b32 v17, v17, 9, 0x7c00
	v_cndmask_b32_e64 v9, 0, 1, vcc_lo
	v_cmp_ne_u32_e32 vcc_lo, v7, v22
	v_bfe_u32 v22, v10, 20, 11
	v_lshrrev_b32_e32 v10, 16, v10
	v_and_or_b32 v9, 0xffe, v20, v9
	v_cvt_f32_f16_e32 v20, v8
	v_cndmask_b32_e64 v21, 0, 1, vcc_lo
	v_mul_f64 v[7:8], v[11:12], s[10:11]
	v_sub_nc_u32_e32 v24, 0x3f1, v22
	v_cmp_gt_i32_e32 vcc_lo, 31, v15
	v_cvt_f64_f32_e32 v[11:12], v20
	v_or_b32_e32 v21, v23, v21
	v_lshl_or_b32 v23, v2, 12, v4
	v_or_b32_e32 v20, 0x1000, v9
	v_med3_i32 v24, v24, 0, 13
	v_cndmask_b32_e32 v18, 0x7c00, v18, vcc_lo
	v_cmp_gt_i32_e32 vcc_lo, 1, v2
	v_add_nc_u32_e32 v19, 0xfffffc10, v22
	s_delay_alu instid0(VALU_DEP_4) | instskip(SKIP_3) | instid1(VALU_DEP_4)
	v_lshrrev_b32_e32 v25, v24, v20
	v_cndmask_b32_e32 v21, v23, v21, vcc_lo
	v_add_co_u32 v0, vcc_lo, v0, s13
	v_add_co_ci_u32_e32 v1, vcc_lo, s12, v1, vcc_lo
	v_lshlrev_b32_e32 v23, v24, v25
	s_delay_alu instid0(VALU_DEP_4) | instskip(SKIP_2) | instid1(VALU_DEP_4)
	v_and_b32_e32 v24, 7, v21
	v_cmp_eq_u32_e32 vcc_lo, 0x40f, v15
	v_mul_f64 v[13:14], v[13:14], s[10:11]
	v_cmp_ne_u32_e64 s1, v23, v20
	s_delay_alu instid0(VALU_DEP_4)
	v_cmp_eq_u32_e64 s0, 3, v24
	v_cndmask_b32_e32 v15, v18, v17, vcc_lo
	v_cmp_lt_i32_e32 vcc_lo, 5, v24
	v_lshrrev_b32_e32 v17, 16, v6
	v_lshrrev_b32_e32 v6, 2, v21
	v_cndmask_b32_e64 v18, 0, 1, s1
	v_lshl_or_b32 v20, v19, 12, v9
	s_or_b32 vcc_lo, s0, vcc_lo
	v_and_or_b32 v15, 0x8000, v17, v15
	v_add_co_ci_u32_e32 v6, vcc_lo, 0, v6, vcc_lo
	v_cmp_ne_u32_e32 vcc_lo, 0, v4
	v_or_b32_e32 v18, v25, v18
	v_and_or_b32 v22, 0x1ff, v8, v7
	v_bfe_u32 v23, v8, 20, 11
	v_and_b32_e32 v15, 0xffff, v15
	v_cndmask_b32_e64 v4, 0, 1, vcc_lo
	v_cmp_gt_i32_e32 vcc_lo, 31, v2
	s_delay_alu instid0(VALU_DEP_2)
	v_lshl_or_b32 v4, v4, 9, 0x7c00
	v_cndmask_b32_e32 v21, 0x7c00, v6, vcc_lo
	v_mul_f64 v[6:7], v[11:12], s[10:11]
	v_add_co_u32 v11, vcc_lo, v0, s13
	v_add_co_ci_u32_e32 v12, vcc_lo, s12, v1, vcc_lo
	v_cmp_gt_i32_e32 vcc_lo, 1, v19
	v_cndmask_b32_e32 v18, v20, v18, vcc_lo
	v_cmp_ne_u32_e32 vcc_lo, 0, v22
	v_lshrrev_b32_e32 v22, 8, v8
	v_lshrrev_b32_e32 v8, 16, v8
	v_cndmask_b32_e64 v20, 0, 1, vcc_lo
	v_cmp_eq_u32_e32 vcc_lo, 0x40f, v2
	s_delay_alu instid0(VALU_DEP_2)
	v_and_or_b32 v20, 0xffe, v22, v20
	v_cndmask_b32_e32 v2, v21, v4, vcc_lo
	v_lshrrev_b32_e32 v4, 16, v5
	v_and_b32_e32 v5, 7, v18
	v_sub_nc_u32_e32 v21, 0x3f1, v23
	v_bfe_u32 v22, v14, 20, 11
	s_delay_alu instid0(VALU_DEP_4) | instskip(NEXT) | instid1(VALU_DEP_4)
	v_and_or_b32 v2, 0x8000, v4, v2
	v_cmp_lt_i32_e32 vcc_lo, 5, v5
	v_cmp_eq_u32_e64 s0, 3, v5
	v_and_or_b32 v5, 0x1ff, v14, v13
	v_lshrrev_b32_e32 v13, 2, v18
	v_or_b32_e32 v4, 0x1000, v20
	v_med3_i32 v17, v21, 0, 13
	s_or_b32 vcc_lo, s0, vcc_lo
	v_lshrrev_b32_e32 v21, 8, v14
	v_add_co_ci_u32_e32 v13, vcc_lo, 0, v13, vcc_lo
	s_delay_alu instid0(VALU_DEP_3)
	v_lshrrev_b32_e32 v18, v17, v4
	v_cmp_ne_u32_e32 vcc_lo, 0, v5
	v_and_or_b32 v6, 0x1ff, v7, v6
	v_lshrrev_b32_e32 v24, 8, v7
	v_bfe_u32 v25, v7, 20, 11
	v_lshlrev_b32_e32 v17, v17, v18
	v_cndmask_b32_e64 v5, 0, 1, vcc_lo
	v_cmp_ne_u32_e32 vcc_lo, 0, v9
	v_lshrrev_b32_e32 v7, 16, v7
	v_lshl_or_b32 v2, v2, 16, v15
	s_delay_alu instid0(VALU_DEP_4)
	v_and_or_b32 v5, 0xffe, v21, v5
	v_cndmask_b32_e64 v9, 0, 1, vcc_lo
	v_cmp_ne_u32_e32 vcc_lo, v17, v4
	v_sub_nc_u32_e32 v21, 0x3f1, v22
	v_add_nc_u32_e32 v17, 0xfffffc10, v23
	v_or_b32_e32 v23, 0x1000, v5
	v_lshl_or_b32 v9, v9, 9, 0x7c00
	v_cndmask_b32_e64 v4, 0, 1, vcc_lo
	v_cmp_gt_i32_e32 vcc_lo, 31, v19
	v_med3_i32 v21, v21, 0, 13
	s_delay_alu instid0(VALU_DEP_3)
	v_or_b32_e32 v4, v18, v4
	v_cndmask_b32_e32 v13, 0x7c00, v13, vcc_lo
	v_cmp_ne_u32_e32 vcc_lo, 0, v6
	v_lshl_or_b32 v18, v17, 12, v20
	v_lshrrev_b32_e32 v26, v21, v23
	v_cndmask_b32_e64 v6, 0, 1, vcc_lo
	v_cmp_gt_i32_e32 vcc_lo, 1, v17
	s_delay_alu instid0(VALU_DEP_2)
	v_and_or_b32 v6, 0xffe, v24, v6
	v_sub_nc_u32_e32 v24, 0x3f1, v25
	v_cndmask_b32_e32 v4, v18, v4, vcc_lo
	v_lshlrev_b32_e32 v18, v21, v26
	v_cmp_eq_u32_e32 vcc_lo, 0x40f, v19
	v_or_b32_e32 v21, 0x1000, v6
	v_med3_i32 v24, v24, 0, 13
	v_and_b32_e32 v27, 7, v4
	v_lshrrev_b32_e32 v4, 2, v4
	v_cndmask_b32_e32 v9, v13, v9, vcc_lo
	v_cmp_ne_u32_e32 vcc_lo, v18, v23
	v_add_nc_u32_e32 v18, 0xfffffc10, v22
	v_lshrrev_b32_e32 v19, v24, v21
	v_cmp_eq_u32_e64 s0, 3, v27
	v_and_or_b32 v9, 0x8000, v10, v9
	v_cndmask_b32_e64 v13, 0, 1, vcc_lo
	v_lshl_or_b32 v22, v18, 12, v5
	v_lshlrev_b32_e32 v23, v24, v19
	v_cmp_gt_i32_e64 s1, 1, v18
	v_cmp_lt_i32_e32 vcc_lo, 5, v27
	v_or_b32_e32 v13, v26, v13
	v_and_b32_e32 v9, 0xffff, v9
	s_or_b32 vcc_lo, s0, vcc_lo
	s_delay_alu instid0(VALU_DEP_2) | instskip(SKIP_3) | instid1(VALU_DEP_4)
	v_cndmask_b32_e64 v13, v22, v13, s1
	v_cmp_ne_u32_e64 s1, v23, v21
	v_add_nc_u32_e32 v22, 0xfffffc10, v25
	v_add_co_ci_u32_e32 v4, vcc_lo, 0, v4, vcc_lo
	v_and_b32_e32 v23, 7, v13
	s_delay_alu instid0(VALU_DEP_4)
	v_cndmask_b32_e64 v21, 0, 1, s1
	v_cmp_ne_u32_e32 vcc_lo, 0, v20
	v_cmp_gt_i32_e64 s0, 1, v22
	v_lshrrev_b32_e32 v13, 2, v13
	v_cmp_gt_i32_e64 s1, 31, v17
	v_or_b32_e32 v19, v19, v21
	v_lshl_or_b32 v21, v22, 12, v6
	v_cndmask_b32_e64 v20, 0, 1, vcc_lo
	v_cmp_lt_i32_e32 vcc_lo, 5, v23
	v_cndmask_b32_e64 v4, 0x7c00, v4, s1
	v_cmp_eq_u32_e64 s1, 0x40f, v17
	v_cndmask_b32_e64 v10, v21, v19, s0
	v_cmp_eq_u32_e64 s0, 3, v23
	v_lshl_or_b32 v19, v20, 9, 0x7c00
	s_delay_alu instid0(VALU_DEP_3) | instskip(NEXT) | instid1(VALU_DEP_3)
	v_and_b32_e32 v20, 7, v10
	s_or_b32 vcc_lo, s0, vcc_lo
	v_lshrrev_b32_e32 v10, 2, v10
	v_add_co_ci_u32_e32 v13, vcc_lo, 0, v13, vcc_lo
	v_cmp_ne_u32_e32 vcc_lo, 0, v5
	v_cmp_eq_u32_e64 s0, 3, v20
	v_cndmask_b32_e64 v4, v4, v19, s1
	v_cmp_gt_i32_e64 s1, 31, v18
	v_cndmask_b32_e64 v5, 0, 1, vcc_lo
	v_cmp_lt_i32_e32 vcc_lo, 5, v20
	s_delay_alu instid0(VALU_DEP_4) | instskip(NEXT) | instid1(VALU_DEP_4)
	v_and_or_b32 v8, 0x8000, v8, v4
	v_cndmask_b32_e64 v13, 0x7c00, v13, s1
	s_delay_alu instid0(VALU_DEP_4)
	v_lshl_or_b32 v5, v5, 9, 0x7c00
	s_or_b32 vcc_lo, s0, vcc_lo
	v_add_co_ci_u32_e32 v10, vcc_lo, 0, v10, vcc_lo
	v_cmp_ne_u32_e32 vcc_lo, 0, v6
	v_cndmask_b32_e64 v6, 0, 1, vcc_lo
	v_cmp_eq_u32_e32 vcc_lo, 0x40f, v18
	s_delay_alu instid0(VALU_DEP_2)
	v_lshl_or_b32 v6, v6, 9, 0x7c00
	v_cndmask_b32_e32 v5, v13, v5, vcc_lo
	v_cmp_gt_i32_e32 vcc_lo, 31, v22
	v_lshrrev_b32_e32 v13, 16, v14
	v_cndmask_b32_e32 v10, 0x7c00, v10, vcc_lo
	v_cmp_eq_u32_e32 vcc_lo, 0x40f, v22
	s_delay_alu instid0(VALU_DEP_3) | instskip(NEXT) | instid1(VALU_DEP_3)
	v_and_or_b32 v13, 0x8000, v13, v5
	v_cndmask_b32_e32 v6, v10, v6, vcc_lo
	v_add_co_u32 v4, vcc_lo, v11, s13
	v_add_co_ci_u32_e32 v5, vcc_lo, s12, v12, vcc_lo
	v_lshl_or_b32 v10, v8, 16, v9
	s_delay_alu instid0(VALU_DEP_4) | instskip(SKIP_3) | instid1(VALU_DEP_3)
	v_and_or_b32 v8, 0x8000, v7, v6
	v_and_b32_e32 v9, 0xffff, v13
	v_add_co_u32 v6, vcc_lo, v4, s13
	v_add_co_ci_u32_e32 v7, vcc_lo, s12, v5, vcc_lo
	v_lshl_or_b32 v13, v8, 16, v9
	s_delay_alu instid0(VALU_DEP_3) | instskip(NEXT) | instid1(VALU_DEP_3)
	v_add_co_u32 v8, vcc_lo, v6, s13
	v_add_co_ci_u32_e32 v9, vcc_lo, s12, v7, vcc_lo
	global_store_b32 v[0:1], v3, off
	global_store_b32 v[11:12], v16, off
	;; [unrolled: 1-line block ×5, first 2 shown]
.LBB0_2:
	s_nop 0
	s_sendmsg sendmsg(MSG_DEALLOC_VGPRS)
	s_endpgm
	.section	.rodata,"a",@progbits
	.p2align	6, 0x0
	.amdhsa_kernel bluestein_single_back_len4050_dim1_half_op_CI_CI
		.amdhsa_group_segment_fixed_size 16200
		.amdhsa_private_segment_fixed_size 336
		.amdhsa_kernarg_size 104
		.amdhsa_user_sgpr_count 15
		.amdhsa_user_sgpr_dispatch_ptr 0
		.amdhsa_user_sgpr_queue_ptr 0
		.amdhsa_user_sgpr_kernarg_segment_ptr 1
		.amdhsa_user_sgpr_dispatch_id 0
		.amdhsa_user_sgpr_private_segment_size 0
		.amdhsa_wavefront_size32 1
		.amdhsa_uses_dynamic_stack 0
		.amdhsa_enable_private_segment 1
		.amdhsa_system_sgpr_workgroup_id_x 1
		.amdhsa_system_sgpr_workgroup_id_y 0
		.amdhsa_system_sgpr_workgroup_id_z 0
		.amdhsa_system_sgpr_workgroup_info 0
		.amdhsa_system_vgpr_workitem_id 0
		.amdhsa_next_free_vgpr 256
		.amdhsa_next_free_sgpr 20
		.amdhsa_reserve_vcc 1
		.amdhsa_float_round_mode_32 0
		.amdhsa_float_round_mode_16_64 0
		.amdhsa_float_denorm_mode_32 3
		.amdhsa_float_denorm_mode_16_64 3
		.amdhsa_dx10_clamp 1
		.amdhsa_ieee_mode 1
		.amdhsa_fp16_overflow 0
		.amdhsa_workgroup_processor_mode 1
		.amdhsa_memory_ordered 1
		.amdhsa_forward_progress 0
		.amdhsa_shared_vgpr_count 0
		.amdhsa_exception_fp_ieee_invalid_op 0
		.amdhsa_exception_fp_denorm_src 0
		.amdhsa_exception_fp_ieee_div_zero 0
		.amdhsa_exception_fp_ieee_overflow 0
		.amdhsa_exception_fp_ieee_underflow 0
		.amdhsa_exception_fp_ieee_inexact 0
		.amdhsa_exception_int_div_zero 0
	.end_amdhsa_kernel
	.text
.Lfunc_end0:
	.size	bluestein_single_back_len4050_dim1_half_op_CI_CI, .Lfunc_end0-bluestein_single_back_len4050_dim1_half_op_CI_CI
                                        ; -- End function
	.section	.AMDGPU.csdata,"",@progbits
; Kernel info:
; codeLenInByte = 62716
; NumSgprs: 22
; NumVgprs: 256
; ScratchSize: 336
; MemoryBound: 0
; FloatMode: 240
; IeeeMode: 1
; LDSByteSize: 16200 bytes/workgroup (compile time only)
; SGPRBlocks: 2
; VGPRBlocks: 31
; NumSGPRsForWavesPerEU: 22
; NumVGPRsForWavesPerEU: 256
; Occupancy: 5
; WaveLimiterHint : 1
; COMPUTE_PGM_RSRC2:SCRATCH_EN: 1
; COMPUTE_PGM_RSRC2:USER_SGPR: 15
; COMPUTE_PGM_RSRC2:TRAP_HANDLER: 0
; COMPUTE_PGM_RSRC2:TGID_X_EN: 1
; COMPUTE_PGM_RSRC2:TGID_Y_EN: 0
; COMPUTE_PGM_RSRC2:TGID_Z_EN: 0
; COMPUTE_PGM_RSRC2:TIDIG_COMP_CNT: 0
	.text
	.p2alignl 7, 3214868480
	.fill 96, 4, 3214868480
	.type	__hip_cuid_bb50879b8def49c0,@object ; @__hip_cuid_bb50879b8def49c0
	.section	.bss,"aw",@nobits
	.globl	__hip_cuid_bb50879b8def49c0
__hip_cuid_bb50879b8def49c0:
	.byte	0                               ; 0x0
	.size	__hip_cuid_bb50879b8def49c0, 1

	.ident	"AMD clang version 19.0.0git (https://github.com/RadeonOpenCompute/llvm-project roc-6.4.0 25133 c7fe45cf4b819c5991fe208aaa96edf142730f1d)"
	.section	".note.GNU-stack","",@progbits
	.addrsig
	.addrsig_sym __hip_cuid_bb50879b8def49c0
	.amdgpu_metadata
---
amdhsa.kernels:
  - .args:
      - .actual_access:  read_only
        .address_space:  global
        .offset:         0
        .size:           8
        .value_kind:     global_buffer
      - .actual_access:  read_only
        .address_space:  global
        .offset:         8
        .size:           8
        .value_kind:     global_buffer
      - .actual_access:  read_only
        .address_space:  global
        .offset:         16
        .size:           8
        .value_kind:     global_buffer
      - .actual_access:  read_only
        .address_space:  global
        .offset:         24
        .size:           8
        .value_kind:     global_buffer
      - .actual_access:  read_only
        .address_space:  global
        .offset:         32
        .size:           8
        .value_kind:     global_buffer
      - .offset:         40
        .size:           8
        .value_kind:     by_value
      - .address_space:  global
        .offset:         48
        .size:           8
        .value_kind:     global_buffer
      - .address_space:  global
        .offset:         56
        .size:           8
        .value_kind:     global_buffer
      - .address_space:  global
        .offset:         64
        .size:           8
        .value_kind:     global_buffer
      - .address_space:  global
        .offset:         72
        .size:           8
        .value_kind:     global_buffer
      - .offset:         80
        .size:           4
        .value_kind:     by_value
      - .address_space:  global
        .offset:         88
        .size:           8
        .value_kind:     global_buffer
      - .address_space:  global
        .offset:         96
        .size:           8
        .value_kind:     global_buffer
    .group_segment_fixed_size: 16200
    .kernarg_segment_align: 8
    .kernarg_segment_size: 104
    .language:       OpenCL C
    .language_version:
      - 2
      - 0
    .max_flat_workgroup_size: 135
    .name:           bluestein_single_back_len4050_dim1_half_op_CI_CI
    .private_segment_fixed_size: 336
    .sgpr_count:     22
    .sgpr_spill_count: 0
    .symbol:         bluestein_single_back_len4050_dim1_half_op_CI_CI.kd
    .uniform_work_group_size: 1
    .uses_dynamic_stack: false
    .vgpr_count:     256
    .vgpr_spill_count: 83
    .wavefront_size: 32
    .workgroup_processor_mode: 1
amdhsa.target:   amdgcn-amd-amdhsa--gfx1100
amdhsa.version:
  - 1
  - 2
...

	.end_amdgpu_metadata
